;; amdgpu-corpus repo=ROCm/rocFFT kind=compiled arch=gfx1201 opt=O3
	.text
	.amdgcn_target "amdgcn-amd-amdhsa--gfx1201"
	.amdhsa_code_object_version 6
	.protected	fft_rtc_fwd_len650_factors_10_5_13_wgs_195_tpt_65_dp_ip_CI_sbrr_dirReg ; -- Begin function fft_rtc_fwd_len650_factors_10_5_13_wgs_195_tpt_65_dp_ip_CI_sbrr_dirReg
	.globl	fft_rtc_fwd_len650_factors_10_5_13_wgs_195_tpt_65_dp_ip_CI_sbrr_dirReg
	.p2align	8
	.type	fft_rtc_fwd_len650_factors_10_5_13_wgs_195_tpt_65_dp_ip_CI_sbrr_dirReg,@function
fft_rtc_fwd_len650_factors_10_5_13_wgs_195_tpt_65_dp_ip_CI_sbrr_dirReg: ; @fft_rtc_fwd_len650_factors_10_5_13_wgs_195_tpt_65_dp_ip_CI_sbrr_dirReg
; %bb.0:
	s_clause 0x1
	s_load_b64 s[12:13], s[0:1], 0x18
	s_load_b128 s[4:7], s[0:1], 0x0
	v_mul_u32_u24_e32 v1, 0x3f1, v0
	v_mov_b32_e32 v3, 0
	s_load_b64 s[10:11], s[0:1], 0x50
	s_wait_kmcnt 0x0
	s_load_b64 s[8:9], s[12:13], 0x0
	v_lshrrev_b32_e32 v1, 16, v1
	v_cmp_lt_u64_e64 s2, s[6:7], 2
	s_delay_alu instid0(VALU_DEP_2) | instskip(SKIP_2) | instid1(VALU_DEP_4)
	v_mad_co_u64_u32 v[40:41], null, ttmp9, 3, v[1:2]
	v_mov_b32_e32 v1, 0
	v_dual_mov_b32 v2, 0 :: v_dual_mov_b32 v41, v3
	s_and_b32 vcc_lo, exec_lo, s2
	s_delay_alu instid0(VALU_DEP_1)
	v_dual_mov_b32 v7, v40 :: v_dual_mov_b32 v8, v41
	s_cbranch_vccnz .LBB0_8
; %bb.1:
	s_load_b64 s[2:3], s[0:1], 0x10
	v_mov_b32_e32 v1, 0
	v_dual_mov_b32 v2, 0 :: v_dual_mov_b32 v5, v40
	v_mov_b32_e32 v6, v41
	s_add_nc_u64 s[14:15], s[12:13], 8
	s_mov_b64 s[16:17], 1
	s_wait_kmcnt 0x0
	s_add_nc_u64 s[18:19], s[2:3], 8
	s_mov_b32 s3, 0
.LBB0_2:                                ; =>This Inner Loop Header: Depth=1
	s_load_b64 s[20:21], s[18:19], 0x0
                                        ; implicit-def: $vgpr7_vgpr8
	s_mov_b32 s2, exec_lo
	s_wait_kmcnt 0x0
	v_or_b32_e32 v4, s21, v6
	s_delay_alu instid0(VALU_DEP_1)
	v_cmpx_ne_u64_e32 0, v[3:4]
	s_wait_alu 0xfffe
	s_xor_b32 s22, exec_lo, s2
	s_cbranch_execz .LBB0_4
; %bb.3:                                ;   in Loop: Header=BB0_2 Depth=1
	s_cvt_f32_u32 s2, s20
	s_cvt_f32_u32 s23, s21
	s_sub_nc_u64 s[26:27], 0, s[20:21]
	s_wait_alu 0xfffe
	s_delay_alu instid0(SALU_CYCLE_1) | instskip(SKIP_1) | instid1(SALU_CYCLE_2)
	s_fmamk_f32 s2, s23, 0x4f800000, s2
	s_wait_alu 0xfffe
	v_s_rcp_f32 s2, s2
	s_delay_alu instid0(TRANS32_DEP_1) | instskip(SKIP_1) | instid1(SALU_CYCLE_2)
	s_mul_f32 s2, s2, 0x5f7ffffc
	s_wait_alu 0xfffe
	s_mul_f32 s23, s2, 0x2f800000
	s_wait_alu 0xfffe
	s_delay_alu instid0(SALU_CYCLE_2) | instskip(SKIP_1) | instid1(SALU_CYCLE_2)
	s_trunc_f32 s23, s23
	s_wait_alu 0xfffe
	s_fmamk_f32 s2, s23, 0xcf800000, s2
	s_cvt_u32_f32 s25, s23
	s_wait_alu 0xfffe
	s_delay_alu instid0(SALU_CYCLE_1) | instskip(SKIP_1) | instid1(SALU_CYCLE_2)
	s_cvt_u32_f32 s24, s2
	s_wait_alu 0xfffe
	s_mul_u64 s[28:29], s[26:27], s[24:25]
	s_wait_alu 0xfffe
	s_mul_hi_u32 s31, s24, s29
	s_mul_i32 s30, s24, s29
	s_mul_hi_u32 s2, s24, s28
	s_mul_i32 s33, s25, s28
	s_wait_alu 0xfffe
	s_add_nc_u64 s[30:31], s[2:3], s[30:31]
	s_mul_hi_u32 s23, s25, s28
	s_mul_hi_u32 s34, s25, s29
	s_add_co_u32 s2, s30, s33
	s_wait_alu 0xfffe
	s_add_co_ci_u32 s2, s31, s23
	s_mul_i32 s28, s25, s29
	s_add_co_ci_u32 s29, s34, 0
	s_wait_alu 0xfffe
	s_add_nc_u64 s[28:29], s[2:3], s[28:29]
	s_wait_alu 0xfffe
	v_add_co_u32 v4, s2, s24, s28
	s_delay_alu instid0(VALU_DEP_1) | instskip(SKIP_1) | instid1(VALU_DEP_1)
	s_cmp_lg_u32 s2, 0
	s_add_co_ci_u32 s25, s25, s29
	v_readfirstlane_b32 s24, v4
	s_wait_alu 0xfffe
	s_delay_alu instid0(VALU_DEP_1)
	s_mul_u64 s[26:27], s[26:27], s[24:25]
	s_wait_alu 0xfffe
	s_mul_hi_u32 s29, s24, s27
	s_mul_i32 s28, s24, s27
	s_mul_hi_u32 s2, s24, s26
	s_mul_i32 s30, s25, s26
	s_wait_alu 0xfffe
	s_add_nc_u64 s[28:29], s[2:3], s[28:29]
	s_mul_hi_u32 s23, s25, s26
	s_mul_hi_u32 s24, s25, s27
	s_wait_alu 0xfffe
	s_add_co_u32 s2, s28, s30
	s_add_co_ci_u32 s2, s29, s23
	s_mul_i32 s26, s25, s27
	s_add_co_ci_u32 s27, s24, 0
	s_wait_alu 0xfffe
	s_add_nc_u64 s[26:27], s[2:3], s[26:27]
	s_wait_alu 0xfffe
	v_add_co_u32 v4, s2, v4, s26
	s_delay_alu instid0(VALU_DEP_1) | instskip(SKIP_1) | instid1(VALU_DEP_1)
	s_cmp_lg_u32 s2, 0
	s_add_co_ci_u32 s2, s25, s27
	v_mul_hi_u32 v13, v5, v4
	s_wait_alu 0xfffe
	v_mad_co_u64_u32 v[7:8], null, v5, s2, 0
	v_mad_co_u64_u32 v[9:10], null, v6, v4, 0
	;; [unrolled: 1-line block ×3, first 2 shown]
	s_delay_alu instid0(VALU_DEP_3) | instskip(SKIP_1) | instid1(VALU_DEP_4)
	v_add_co_u32 v4, vcc_lo, v13, v7
	s_wait_alu 0xfffd
	v_add_co_ci_u32_e32 v7, vcc_lo, 0, v8, vcc_lo
	s_delay_alu instid0(VALU_DEP_2) | instskip(SKIP_1) | instid1(VALU_DEP_2)
	v_add_co_u32 v4, vcc_lo, v4, v9
	s_wait_alu 0xfffd
	v_add_co_ci_u32_e32 v4, vcc_lo, v7, v10, vcc_lo
	s_wait_alu 0xfffd
	v_add_co_ci_u32_e32 v7, vcc_lo, 0, v12, vcc_lo
	s_delay_alu instid0(VALU_DEP_2) | instskip(SKIP_1) | instid1(VALU_DEP_2)
	v_add_co_u32 v4, vcc_lo, v4, v11
	s_wait_alu 0xfffd
	v_add_co_ci_u32_e32 v9, vcc_lo, 0, v7, vcc_lo
	s_delay_alu instid0(VALU_DEP_2) | instskip(SKIP_1) | instid1(VALU_DEP_3)
	v_mul_lo_u32 v10, s21, v4
	v_mad_co_u64_u32 v[7:8], null, s20, v4, 0
	v_mul_lo_u32 v11, s20, v9
	s_delay_alu instid0(VALU_DEP_2) | instskip(NEXT) | instid1(VALU_DEP_2)
	v_sub_co_u32 v7, vcc_lo, v5, v7
	v_add3_u32 v8, v8, v11, v10
	s_delay_alu instid0(VALU_DEP_1) | instskip(SKIP_1) | instid1(VALU_DEP_1)
	v_sub_nc_u32_e32 v10, v6, v8
	s_wait_alu 0xfffd
	v_subrev_co_ci_u32_e64 v10, s2, s21, v10, vcc_lo
	v_add_co_u32 v11, s2, v4, 2
	s_wait_alu 0xf1ff
	v_add_co_ci_u32_e64 v12, s2, 0, v9, s2
	v_sub_co_u32 v13, s2, v7, s20
	v_sub_co_ci_u32_e32 v8, vcc_lo, v6, v8, vcc_lo
	s_wait_alu 0xf1ff
	v_subrev_co_ci_u32_e64 v10, s2, 0, v10, s2
	s_delay_alu instid0(VALU_DEP_3) | instskip(NEXT) | instid1(VALU_DEP_3)
	v_cmp_le_u32_e32 vcc_lo, s20, v13
	v_cmp_eq_u32_e64 s2, s21, v8
	s_wait_alu 0xfffd
	v_cndmask_b32_e64 v13, 0, -1, vcc_lo
	v_cmp_le_u32_e32 vcc_lo, s21, v10
	s_wait_alu 0xfffd
	v_cndmask_b32_e64 v14, 0, -1, vcc_lo
	v_cmp_le_u32_e32 vcc_lo, s20, v7
	;; [unrolled: 3-line block ×3, first 2 shown]
	s_wait_alu 0xfffd
	v_cndmask_b32_e64 v15, 0, -1, vcc_lo
	v_cmp_eq_u32_e32 vcc_lo, s21, v10
	s_wait_alu 0xf1ff
	s_delay_alu instid0(VALU_DEP_2)
	v_cndmask_b32_e64 v7, v15, v7, s2
	s_wait_alu 0xfffd
	v_cndmask_b32_e32 v10, v14, v13, vcc_lo
	v_add_co_u32 v13, vcc_lo, v4, 1
	s_wait_alu 0xfffd
	v_add_co_ci_u32_e32 v14, vcc_lo, 0, v9, vcc_lo
	s_delay_alu instid0(VALU_DEP_3) | instskip(SKIP_2) | instid1(VALU_DEP_3)
	v_cmp_ne_u32_e32 vcc_lo, 0, v10
	s_wait_alu 0xfffd
	v_cndmask_b32_e32 v10, v13, v11, vcc_lo
	v_cndmask_b32_e32 v8, v14, v12, vcc_lo
	v_cmp_ne_u32_e32 vcc_lo, 0, v7
	s_wait_alu 0xfffd
	s_delay_alu instid0(VALU_DEP_2)
	v_dual_cndmask_b32 v7, v4, v10 :: v_dual_cndmask_b32 v8, v9, v8
.LBB0_4:                                ;   in Loop: Header=BB0_2 Depth=1
	s_wait_alu 0xfffe
	s_and_not1_saveexec_b32 s2, s22
	s_cbranch_execz .LBB0_6
; %bb.5:                                ;   in Loop: Header=BB0_2 Depth=1
	v_cvt_f32_u32_e32 v4, s20
	s_sub_co_i32 s22, 0, s20
	s_delay_alu instid0(VALU_DEP_1) | instskip(NEXT) | instid1(TRANS32_DEP_1)
	v_rcp_iflag_f32_e32 v4, v4
	v_mul_f32_e32 v4, 0x4f7ffffe, v4
	s_delay_alu instid0(VALU_DEP_1) | instskip(SKIP_1) | instid1(VALU_DEP_1)
	v_cvt_u32_f32_e32 v4, v4
	s_wait_alu 0xfffe
	v_mul_lo_u32 v7, s22, v4
	s_delay_alu instid0(VALU_DEP_1) | instskip(NEXT) | instid1(VALU_DEP_1)
	v_mul_hi_u32 v7, v4, v7
	v_add_nc_u32_e32 v4, v4, v7
	s_delay_alu instid0(VALU_DEP_1) | instskip(NEXT) | instid1(VALU_DEP_1)
	v_mul_hi_u32 v4, v5, v4
	v_mul_lo_u32 v7, v4, s20
	v_add_nc_u32_e32 v8, 1, v4
	s_delay_alu instid0(VALU_DEP_2) | instskip(NEXT) | instid1(VALU_DEP_1)
	v_sub_nc_u32_e32 v7, v5, v7
	v_subrev_nc_u32_e32 v9, s20, v7
	v_cmp_le_u32_e32 vcc_lo, s20, v7
	s_wait_alu 0xfffd
	s_delay_alu instid0(VALU_DEP_2) | instskip(NEXT) | instid1(VALU_DEP_1)
	v_dual_cndmask_b32 v7, v7, v9 :: v_dual_cndmask_b32 v4, v4, v8
	v_cmp_le_u32_e32 vcc_lo, s20, v7
	s_delay_alu instid0(VALU_DEP_2) | instskip(SKIP_1) | instid1(VALU_DEP_1)
	v_add_nc_u32_e32 v8, 1, v4
	s_wait_alu 0xfffd
	v_dual_cndmask_b32 v7, v4, v8 :: v_dual_mov_b32 v8, v3
.LBB0_6:                                ;   in Loop: Header=BB0_2 Depth=1
	s_wait_alu 0xfffe
	s_or_b32 exec_lo, exec_lo, s2
	s_load_b64 s[22:23], s[14:15], 0x0
	s_delay_alu instid0(VALU_DEP_1)
	v_mul_lo_u32 v4, v8, s20
	v_mul_lo_u32 v11, v7, s21
	v_mad_co_u64_u32 v[9:10], null, v7, s20, 0
	s_add_nc_u64 s[16:17], s[16:17], 1
	s_add_nc_u64 s[14:15], s[14:15], 8
	s_wait_alu 0xfffe
	v_cmp_ge_u64_e64 s2, s[16:17], s[6:7]
	s_add_nc_u64 s[18:19], s[18:19], 8
	s_delay_alu instid0(VALU_DEP_2) | instskip(NEXT) | instid1(VALU_DEP_3)
	v_add3_u32 v4, v10, v11, v4
	v_sub_co_u32 v5, vcc_lo, v5, v9
	s_wait_alu 0xfffd
	s_delay_alu instid0(VALU_DEP_2) | instskip(SKIP_3) | instid1(VALU_DEP_2)
	v_sub_co_ci_u32_e32 v4, vcc_lo, v6, v4, vcc_lo
	s_and_b32 vcc_lo, exec_lo, s2
	s_wait_kmcnt 0x0
	v_mul_lo_u32 v6, s23, v5
	v_mul_lo_u32 v4, s22, v4
	v_mad_co_u64_u32 v[1:2], null, s22, v5, v[1:2]
	s_delay_alu instid0(VALU_DEP_1)
	v_add3_u32 v2, v6, v2, v4
	s_wait_alu 0xfffe
	s_cbranch_vccnz .LBB0_8
; %bb.7:                                ;   in Loop: Header=BB0_2 Depth=1
	v_dual_mov_b32 v5, v7 :: v_dual_mov_b32 v6, v8
	s_branch .LBB0_2
.LBB0_8:
	s_lshl_b64 s[2:3], s[6:7], 3
	v_mul_hi_u32 v3, 0x3f03f04, v0
	s_wait_alu 0xfffe
	s_add_nc_u64 s[2:3], s[12:13], s[2:3]
	s_load_b64 s[2:3], s[2:3], 0x0
	s_load_b64 s[0:1], s[0:1], 0x20
	s_delay_alu instid0(VALU_DEP_1) | instskip(NEXT) | instid1(VALU_DEP_1)
	v_mul_u32_u24_e32 v3, 0x41, v3
	v_sub_nc_u32_e32 v64, v0, v3
	s_delay_alu instid0(VALU_DEP_1)
	v_add_nc_u32_e32 v41, 0x41, v64
	s_wait_kmcnt 0x0
	v_mul_lo_u32 v4, s2, v8
	v_mul_lo_u32 v5, s3, v7
	v_mad_co_u64_u32 v[1:2], null, s2, v7, v[1:2]
	v_cmp_gt_u64_e32 vcc_lo, s[0:1], v[7:8]
	v_cmp_le_u64_e64 s0, s[0:1], v[7:8]
	s_delay_alu instid0(VALU_DEP_3) | instskip(NEXT) | instid1(VALU_DEP_2)
	v_add3_u32 v2, v5, v2, v4
	s_and_saveexec_b32 s1, s0
	s_wait_alu 0xfffe
	s_xor_b32 s0, exec_lo, s1
; %bb.9:
	v_add_nc_u32_e32 v41, 0x41, v64
; %bb.10:
	s_wait_alu 0xfffe
	s_or_saveexec_b32 s1, s0
	v_lshlrev_b64_e32 v[60:61], 4, v[1:2]
                                        ; implicit-def: $vgpr14_vgpr15
                                        ; implicit-def: $vgpr10_vgpr11
                                        ; implicit-def: $vgpr22_vgpr23
                                        ; implicit-def: $vgpr26_vgpr27
                                        ; implicit-def: $vgpr34_vgpr35
                                        ; implicit-def: $vgpr38_vgpr39
                                        ; implicit-def: $vgpr30_vgpr31
                                        ; implicit-def: $vgpr18_vgpr19
                                        ; implicit-def: $vgpr6_vgpr7
                                        ; implicit-def: $vgpr2_vgpr3
	s_wait_alu 0xfffe
	s_xor_b32 exec_lo, exec_lo, s1
	s_cbranch_execz .LBB0_12
; %bb.11:
	v_add_nc_u32_e32 v10, 0x82, v64
	v_mad_co_u64_u32 v[0:1], null, s8, v64, 0
	v_mad_co_u64_u32 v[2:3], null, s8, v41, 0
	s_delay_alu instid0(VALU_DEP_3)
	v_mad_co_u64_u32 v[4:5], null, s8, v10, 0
	v_add_nc_u32_e32 v11, 0xc3, v64
	v_add_co_u32 v27, s0, s10, v60
	s_wait_alu 0xf1ff
	v_add_co_ci_u32_e64 v34, s0, s11, v61, s0
	v_mad_co_u64_u32 v[6:7], null, s9, v64, v[1:2]
	v_mad_co_u64_u32 v[7:8], null, s9, v41, v[3:4]
	;; [unrolled: 1-line block ×3, first 2 shown]
	v_dual_mov_b32 v3, v5 :: v_dual_add_nc_u32 v16, 0x104, v64
	s_delay_alu instid0(VALU_DEP_4) | instskip(SKIP_1) | instid1(VALU_DEP_3)
	v_dual_mov_b32 v1, v6 :: v_dual_add_nc_u32 v18, 0x145, v64
	v_add_nc_u32_e32 v25, 0x186, v64
	v_mad_co_u64_u32 v[5:6], null, s9, v10, v[3:4]
	v_dual_mov_b32 v3, v7 :: v_dual_mov_b32 v6, v9
	s_delay_alu instid0(VALU_DEP_4) | instskip(SKIP_2) | instid1(VALU_DEP_4)
	v_lshlrev_b64_e32 v[0:1], 4, v[0:1]
	v_mad_co_u64_u32 v[12:13], null, s8, v16, 0
	v_mad_co_u64_u32 v[14:15], null, s8, v18, 0
	;; [unrolled: 1-line block ×3, first 2 shown]
	v_lshlrev_b64_e32 v[2:3], 4, v[2:3]
	v_add_co_u32 v0, s0, v27, v0
	v_lshlrev_b64_e32 v[10:11], 4, v[4:5]
	s_wait_alu 0xf1ff
	v_add_co_ci_u32_e64 v1, s0, v34, v1, s0
	v_mad_co_u64_u32 v[16:17], null, s9, v16, v[13:14]
	v_dual_mov_b32 v13, v15 :: v_dual_add_nc_u32 v26, 0x1c7, v64
	v_add_co_u32 v6, s0, v27, v2
	v_lshlrev_b64_e32 v[8:9], 4, v[8:9]
	s_wait_alu 0xf1ff
	v_add_co_ci_u32_e64 v7, s0, v34, v3, s0
	v_add_co_u32 v10, s0, v27, v10
	v_mad_co_u64_u32 v[22:23], null, s9, v18, v[13:14]
	s_wait_alu 0xf1ff
	v_add_co_ci_u32_e64 v11, s0, v34, v11, s0
	v_mad_co_u64_u32 v[20:21], null, s8, v25, 0
	v_add_co_u32 v8, s0, v27, v8
	v_mov_b32_e32 v13, v16
	s_wait_alu 0xf1ff
	v_add_co_ci_u32_e64 v9, s0, v34, v9, s0
	s_clause 0x1
	global_load_b128 v[0:3], v[0:1], off
	global_load_b128 v[4:7], v[6:7], off
	v_mad_co_u64_u32 v[23:24], null, s8, v26, 0
	s_clause 0x1
	global_load_b128 v[16:19], v[10:11], off
	global_load_b128 v[28:31], v[8:9], off
	v_dual_mov_b32 v15, v22 :: v_dual_add_nc_u32 v22, 0x208, v64
	v_lshlrev_b64_e32 v[9:10], 4, v[12:13]
	v_mov_b32_e32 v8, v21
	s_delay_alu instid0(VALU_DEP_1) | instskip(SKIP_3) | instid1(VALU_DEP_3)
	v_mad_co_u64_u32 v[11:12], null, s9, v25, v[8:9]
	v_mov_b32_e32 v8, v24
	v_mad_co_u64_u32 v[12:13], null, s8, v22, 0
	v_add_nc_u32_e32 v35, 0x249, v64
	v_mad_co_u64_u32 v[24:25], null, s9, v26, v[8:9]
	v_add_co_u32 v8, s0, v27, v9
	s_wait_alu 0xf1ff
	v_add_co_ci_u32_e64 v9, s0, v34, v10, s0
	v_mov_b32_e32 v10, v13
	v_mad_co_u64_u32 v[25:26], null, s8, v35, 0
	v_lshlrev_b64_e32 v[13:14], 4, v[14:15]
	v_mov_b32_e32 v21, v11
	s_delay_alu instid0(VALU_DEP_4) | instskip(NEXT) | instid1(VALU_DEP_4)
	v_mad_co_u64_u32 v[10:11], null, s9, v22, v[10:11]
	v_mov_b32_e32 v11, v26
	s_delay_alu instid0(VALU_DEP_4)
	v_add_co_u32 v32, s0, v27, v13
	s_wait_alu 0xf1ff
	v_add_co_ci_u32_e64 v33, s0, v34, v14, s0
	v_lshlrev_b64_e32 v[14:15], 4, v[20:21]
	v_mad_co_u64_u32 v[20:21], null, s9, v35, v[11:12]
	v_mov_b32_e32 v13, v10
	v_lshlrev_b64_e32 v[21:22], 4, v[23:24]
	s_delay_alu instid0(VALU_DEP_4) | instskip(NEXT) | instid1(VALU_DEP_3)
	v_add_co_u32 v10, s0, v27, v14
	v_lshlrev_b64_e32 v[12:13], 4, v[12:13]
	v_mov_b32_e32 v26, v20
	s_wait_alu 0xf1ff
	v_add_co_ci_u32_e64 v11, s0, v34, v15, s0
	v_add_co_u32 v14, s0, v27, v21
	s_delay_alu instid0(VALU_DEP_3)
	v_lshlrev_b64_e32 v[20:21], 4, v[25:26]
	s_wait_alu 0xf1ff
	v_add_co_ci_u32_e64 v15, s0, v34, v22, s0
	v_add_co_u32 v12, s0, v27, v12
	s_wait_alu 0xf1ff
	v_add_co_ci_u32_e64 v13, s0, v34, v13, s0
	v_add_co_u32 v42, s0, v27, v20
	s_wait_alu 0xf1ff
	v_add_co_ci_u32_e64 v43, s0, v34, v21, s0
	s_clause 0x5
	global_load_b128 v[36:39], v[8:9], off
	global_load_b128 v[32:35], v[32:33], off
	;; [unrolled: 1-line block ×6, first 2 shown]
.LBB0_12:
	s_or_b32 exec_lo, exec_lo, s1
	s_wait_loadcnt 0x2
	v_add_f64_e32 v[42:43], v[20:21], v[32:33]
	s_wait_loadcnt 0x0
	v_add_f64_e32 v[44:45], v[12:13], v[28:29]
	v_add_f64_e32 v[46:47], v[14:15], v[30:31]
	v_add_f64_e32 v[48:49], v[22:23], v[34:35]
	v_add_f64_e64 v[50:51], v[30:31], -v[14:15]
	v_add_f64_e64 v[52:53], v[34:35], -v[22:23]
	;; [unrolled: 1-line block ×4, first 2 shown]
	s_mov_b32 s0, 0x134454ff
	s_mov_b32 s1, 0x3fee6f0e
	;; [unrolled: 1-line block ×3, first 2 shown]
	s_wait_alu 0xfffe
	s_mov_b32 s2, s0
	v_add_f64_e32 v[58:59], v[24:25], v[36:37]
	v_add_f64_e32 v[62:63], v[8:9], v[16:17]
	;; [unrolled: 1-line block ×4, first 2 shown]
	v_add_f64_e64 v[69:70], v[28:29], -v[32:33]
	v_add_f64_e64 v[71:72], v[12:13], -v[20:21]
	;; [unrolled: 1-line block ×8, first 2 shown]
	s_mov_b32 s6, 0x4755a5e
	s_mov_b32 s7, 0x3fe2cf23
	;; [unrolled: 1-line block ×3, first 2 shown]
	s_wait_alu 0xfffe
	s_mov_b32 s12, s6
	v_add_f64_e64 v[93:94], v[18:19], -v[10:11]
	v_add_f64_e64 v[95:96], v[38:39], -v[26:27]
	;; [unrolled: 1-line block ×4, first 2 shown]
	s_mov_b32 s14, 0x372fe950
	s_mov_b32 s15, 0x3fd3c6ef
	;; [unrolled: 1-line block ×4, first 2 shown]
	v_fma_f64 v[42:43], v[42:43], -0.5, v[4:5]
	v_fma_f64 v[44:45], v[44:45], -0.5, v[4:5]
	;; [unrolled: 1-line block ×4, first 2 shown]
	v_add_f64_e32 v[4:5], v[28:29], v[4:5]
	v_add_f64_e32 v[6:7], v[30:31], v[6:7]
	;; [unrolled: 1-line block ×4, first 2 shown]
	v_fma_f64 v[58:59], v[58:59], -0.5, v[0:1]
	v_fma_f64 v[0:1], v[62:63], -0.5, v[0:1]
	;; [unrolled: 1-line block ×4, first 2 shown]
	v_add_f64_e32 v[65:66], v[71:72], v[69:70]
	v_add_f64_e32 v[67:68], v[75:76], v[73:74]
	v_fma_f64 v[81:82], v[50:51], s[0:1], v[42:43]
	v_fma_f64 v[83:84], v[52:53], s[2:3], v[44:45]
	v_fma_f64 v[44:45], v[52:53], s[0:1], v[44:45]
	v_fma_f64 v[42:43], v[50:51], s[2:3], v[42:43]
	v_fma_f64 v[89:90], v[56:57], s[2:3], v[46:47]
	v_fma_f64 v[91:92], v[54:55], s[0:1], v[48:49]
	v_fma_f64 v[48:49], v[54:55], s[2:3], v[48:49]
	v_fma_f64 v[46:47], v[56:57], s[0:1], v[46:47]
	v_add_f64_e32 v[28:29], v[36:37], v[28:29]
	v_add_f64_e32 v[30:31], v[38:39], v[30:31]
	;; [unrolled: 1-line block ×4, first 2 shown]
	v_fma_f64 v[32:33], v[93:94], s[0:1], v[58:59]
	v_fma_f64 v[34:35], v[93:94], s[2:3], v[58:59]
	;; [unrolled: 1-line block ×7, first 2 shown]
	v_add_f64_e32 v[52:53], v[87:88], v[85:86]
	v_fma_f64 v[73:74], v[54:55], s[6:7], v[89:90]
	v_add_f64_e32 v[50:51], v[79:80], v[77:78]
	v_fma_f64 v[75:76], v[56:57], s[6:7], v[91:92]
	v_add_f64_e64 v[77:78], v[16:17], -v[36:37]
	v_add_f64_e64 v[79:80], v[8:9], -v[24:25]
	;; [unrolled: 1-line block ×6, first 2 shown]
	v_fma_f64 v[36:37], v[95:96], s[2:3], v[0:1]
	v_fma_f64 v[38:39], v[97:98], s[2:3], v[62:63]
	;; [unrolled: 1-line block ×4, first 2 shown]
	v_add_f64_e64 v[83:84], v[24:25], -v[8:9]
	v_add_f64_e64 v[87:88], v[26:27], -v[10:11]
	v_fma_f64 v[62:63], v[99:100], s[0:1], v[2:3]
	v_fma_f64 v[0:1], v[95:96], s[0:1], v[0:1]
	;; [unrolled: 1-line block ×3, first 2 shown]
	v_add_f64_e32 v[24:25], v[24:25], v[28:29]
	v_add_f64_e32 v[26:27], v[26:27], v[30:31]
	;; [unrolled: 1-line block ×4, first 2 shown]
	v_fma_f64 v[20:21], v[95:96], s[6:7], v[32:33]
	v_fma_f64 v[32:33], v[99:100], s[6:7], v[58:59]
	;; [unrolled: 1-line block ×9, first 2 shown]
	v_add_f64_e32 v[69:70], v[79:80], v[77:78]
	v_add_f64_e32 v[71:72], v[85:86], v[81:82]
	v_fma_f64 v[28:29], v[93:94], s[6:7], v[36:37]
	v_fma_f64 v[30:31], v[99:100], s[12:13], v[38:39]
	;; [unrolled: 1-line block ×4, first 2 shown]
	v_add_f64_e32 v[16:17], v[83:84], v[16:17]
	v_add_f64_e32 v[18:19], v[87:88], v[18:19]
	v_fma_f64 v[34:35], v[97:98], s[12:13], v[62:63]
	v_fma_f64 v[0:1], v[93:94], s[12:13], v[0:1]
	;; [unrolled: 1-line block ×3, first 2 shown]
	v_add_f64_e32 v[8:9], v[8:9], v[24:25]
	v_add_f64_e32 v[10:11], v[10:11], v[26:27]
	;; [unrolled: 1-line block ×4, first 2 shown]
	s_wait_alu 0xfffe
	v_mul_f64_e32 v[46:47], s[16:17], v[54:55]
	v_mul_f64_e32 v[48:49], s[14:15], v[56:57]
	;; [unrolled: 1-line block ×8, first 2 shown]
	v_fma_f64 v[24:25], v[69:70], s[14:15], v[20:21]
	v_fma_f64 v[26:27], v[69:70], s[14:15], v[22:23]
	;; [unrolled: 1-line block ×8, first 2 shown]
	v_mul_hi_u32 v0, 0xaaaaaaab, v40
	v_add_f64_e32 v[2:3], v[6:7], v[10:11]
	v_add_f64_e64 v[6:7], v[10:11], -v[6:7]
	s_delay_alu instid0(VALU_DEP_3)
	v_lshrrev_b32_e32 v0, 1, v0
	v_fma_f64 v[32:33], v[36:37], s[6:7], v[46:47]
	v_fma_f64 v[46:47], v[38:39], s[0:1], v[48:49]
	v_fma_f64 v[48:49], v[65:66], s[0:1], -v[50:51]
	v_fma_f64 v[50:51], v[67:68], s[6:7], -v[52:53]
	v_fma_f64 v[52:53], v[36:37], s[16:17], v[54:55]
	v_fma_f64 v[38:39], v[38:39], s[14:15], v[56:57]
	v_fma_f64 v[44:45], v[44:45], s[2:3], -v[58:59]
	v_fma_f64 v[42:43], v[42:43], s[12:13], -v[62:63]
	v_lshl_add_u32 v55, v0, 1, v0
	v_add_f64_e32 v[0:1], v[4:5], v[8:9]
	v_add_f64_e64 v[4:5], v[8:9], -v[4:5]
	v_and_b32_e32 v54, 0xff, v64
	s_delay_alu instid0(VALU_DEP_4) | instskip(NEXT) | instid1(VALU_DEP_1)
	v_sub_nc_u32_e32 v40, v40, v55
	v_mul_u32_u24_e32 v40, 0x28a, v40
	s_delay_alu instid0(VALU_DEP_1)
	v_lshlrev_b32_e32 v40, 4, v40
	v_add_f64_e32 v[8:9], v[24:25], v[32:33]
	v_add_f64_e32 v[12:13], v[28:29], v[46:47]
	;; [unrolled: 1-line block ×8, first 2 shown]
	v_add_f64_e64 v[24:25], v[24:25], -v[32:33]
	v_add_f64_e64 v[36:37], v[26:27], -v[50:51]
	v_add_f64_e64 v[26:27], v[30:31], -v[52:53]
	v_add_f64_e64 v[28:29], v[28:29], -v[46:47]
	v_add_f64_e64 v[30:31], v[34:35], -v[38:39]
	v_add_f64_e64 v[32:33], v[69:70], -v[48:49]
	v_add_f64_e64 v[34:35], v[73:74], -v[44:45]
	v_add_f64_e64 v[38:39], v[71:72], -v[42:43]
	v_and_b32_e32 v42, 0xff, v41
	v_mul_lo_u16 v43, 0xcd, v54
	v_mul_u32_u24_e32 v44, 10, v64
	v_add_nc_u32_e32 v46, 0, v40
	s_delay_alu instid0(VALU_DEP_4) | instskip(NEXT) | instid1(VALU_DEP_4)
	v_mul_lo_u16 v42, 0xcd, v42
	v_lshrrev_b16 v43, 11, v43
	s_delay_alu instid0(VALU_DEP_2) | instskip(NEXT) | instid1(VALU_DEP_2)
	v_lshrrev_b16 v47, 11, v42
	v_mul_lo_u16 v42, v43, 10
	s_delay_alu instid0(VALU_DEP_2) | instskip(NEXT) | instid1(VALU_DEP_2)
	v_mul_lo_u16 v45, v47, 10
	v_sub_nc_u16 v42, v64, v42
	s_delay_alu instid0(VALU_DEP_2) | instskip(NEXT) | instid1(VALU_DEP_2)
	v_sub_nc_u16 v45, v41, v45
	v_and_b32_e32 v59, 0xff, v42
	v_lshl_add_u32 v42, v44, 4, v46
	ds_store_b128 v42, v[0:3]
	ds_store_b128 v42, v[8:11] offset:16
	ds_store_b128 v42, v[12:15] offset:32
	;; [unrolled: 1-line block ×9, first 2 shown]
	v_and_b32_e32 v113, 0xff, v45
	v_lshlrev_b32_e32 v44, 6, v59
	global_wb scope:SCOPE_SE
	s_wait_dscnt 0x0
	s_barrier_signal -1
	s_barrier_wait -1
	v_lshlrev_b32_e32 v28, 6, v113
	global_inv scope:SCOPE_SE
	s_clause 0x7
	global_load_b128 v[0:3], v44, s[4:5]
	global_load_b128 v[4:7], v44, s[4:5] offset:16
	global_load_b128 v[8:11], v44, s[4:5] offset:32
	;; [unrolled: 1-line block ×3, first 2 shown]
	global_load_b128 v[16:19], v28, s[4:5]
	global_load_b128 v[20:23], v28, s[4:5] offset:16
	global_load_b128 v[24:27], v28, s[4:5] offset:32
	global_load_b128 v[28:31], v28, s[4:5] offset:48
	v_mad_i32_i24 v48, 0xffffff70, v64, v42
	ds_load_b128 v[32:35], v48 offset:2080
	ds_load_b128 v[36:39], v48 offset:4160
	;; [unrolled: 1-line block ×8, first 2 shown]
	v_lshl_add_u32 v44, v64, 4, v46
	v_lshl_add_u32 v41, v41, 4, v46
	ds_load_b128 v[81:84], v44
	ds_load_b128 v[85:88], v41
	global_wb scope:SCOPE_SE
	s_wait_loadcnt_dscnt 0x0
	s_barrier_signal -1
	s_barrier_wait -1
	global_inv scope:SCOPE_SE
	v_mul_f64_e32 v[41:42], v[34:35], v[2:3]
	v_mul_f64_e32 v[45:46], v[38:39], v[6:7]
	;; [unrolled: 1-line block ×16, first 2 shown]
	v_fma_f64 v[32:33], v[32:33], v[0:1], -v[41:42]
	v_fma_f64 v[36:37], v[36:37], v[4:5], -v[45:46]
	;; [unrolled: 1-line block ×3, first 2 shown]
	v_fma_f64 v[0:1], v[34:35], v[0:1], v[2:3]
	v_fma_f64 v[2:3], v[53:54], v[12:13], -v[62:63]
	v_fma_f64 v[4:5], v[38:39], v[4:5], v[6:7]
	v_fma_f64 v[6:7], v[51:52], v[8:9], v[10:11]
	v_fma_f64 v[8:9], v[55:56], v[12:13], v[14:15]
	v_fma_f64 v[10:11], v[65:66], v[16:17], -v[89:90]
	v_fma_f64 v[12:13], v[69:70], v[20:21], -v[91:92]
	;; [unrolled: 1-line block ×3, first 2 shown]
	v_fma_f64 v[16:17], v[67:68], v[16:17], v[18:19]
	v_fma_f64 v[18:19], v[77:78], v[28:29], -v[95:96]
	v_fma_f64 v[20:21], v[71:72], v[20:21], v[22:23]
	v_fma_f64 v[22:23], v[75:76], v[24:25], v[26:27]
	;; [unrolled: 1-line block ×3, first 2 shown]
	v_add_f64_e32 v[53:54], v[81:82], v[32:33]
	v_add_f64_e32 v[26:27], v[36:37], v[41:42]
	v_add_f64_e32 v[55:56], v[83:84], v[0:1]
	v_add_f64_e32 v[28:29], v[32:33], v[2:3]
	v_add_f64_e64 v[69:70], v[32:33], -v[2:3]
	v_add_f64_e32 v[30:31], v[4:5], v[6:7]
	v_add_f64_e32 v[34:35], v[0:1], v[8:9]
	;; [unrolled: 1-line block ×3, first 2 shown]
	v_add_f64_e64 v[65:66], v[0:1], -v[8:9]
	v_add_f64_e32 v[38:39], v[12:13], v[14:15]
	v_add_f64_e32 v[62:63], v[87:88], v[16:17]
	;; [unrolled: 1-line block ×3, first 2 shown]
	v_add_f64_e64 v[67:68], v[4:5], -v[6:7]
	v_add_f64_e32 v[49:50], v[20:21], v[22:23]
	v_add_f64_e32 v[51:52], v[16:17], v[24:25]
	v_add_f64_e64 v[71:72], v[36:37], -v[41:42]
	v_add_f64_e64 v[73:74], v[16:17], -v[24:25]
	;; [unrolled: 1-line block ×15, first 2 shown]
	v_fma_f64 v[26:27], v[26:27], -0.5, v[81:82]
	v_fma_f64 v[28:29], v[28:29], -0.5, v[81:82]
	v_add_f64_e64 v[81:82], v[32:33], -v[36:37]
	v_fma_f64 v[30:31], v[30:31], -0.5, v[83:84]
	v_fma_f64 v[34:35], v[34:35], -0.5, v[83:84]
	v_add_f64_e64 v[83:84], v[2:3], -v[41:42]
	v_add_f64_e64 v[32:33], v[36:37], -v[32:33]
	v_fma_f64 v[38:39], v[38:39], -0.5, v[85:86]
	v_add_f64_e32 v[36:37], v[53:54], v[36:37]
	v_fma_f64 v[45:46], v[45:46], -0.5, v[85:86]
	v_add_f64_e64 v[85:86], v[41:42], -v[2:3]
	v_fma_f64 v[49:50], v[49:50], -0.5, v[87:88]
	v_fma_f64 v[51:52], v[51:52], -0.5, v[87:88]
	v_add_f64_e64 v[87:88], v[0:1], -v[4:5]
	v_add_f64_e64 v[0:1], v[4:5], -v[0:1]
	v_add_f64_e32 v[4:5], v[55:56], v[4:5]
	v_add_f64_e32 v[12:13], v[57:58], v[12:13]
	;; [unrolled: 1-line block ×3, first 2 shown]
	v_fma_f64 v[53:54], v[65:66], s[0:1], v[26:27]
	v_fma_f64 v[26:27], v[65:66], s[2:3], v[26:27]
	;; [unrolled: 1-line block ×16, first 2 shown]
	v_add_f64_e32 v[81:82], v[81:82], v[83:84]
	v_add_f64_e32 v[32:33], v[32:33], v[85:86]
	;; [unrolled: 1-line block ×12, first 2 shown]
	v_cmp_gt_u32_e64 s0, 50, v64
	v_fma_f64 v[16:17], v[67:68], s[6:7], v[53:54]
	v_fma_f64 v[20:21], v[67:68], s[12:13], v[26:27]
	;; [unrolled: 1-line block ×16, first 2 shown]
	v_add_f64_e32 v[0:1], v[0:1], v[2:3]
	v_add_f64_e32 v[2:3], v[4:5], v[8:9]
	;; [unrolled: 1-line block ×4, first 2 shown]
	v_fma_f64 v[36:37], v[81:82], s[14:15], v[16:17]
	v_fma_f64 v[8:9], v[81:82], s[14:15], v[20:21]
	;; [unrolled: 1-line block ×16, first 2 shown]
	v_and_b32_e32 v41, 0xffff, v43
	v_and_b32_e32 v42, 0xffff, v47
	v_lshlrev_b32_e32 v43, 4, v59
	v_lshlrev_b32_e32 v45, 4, v113
                                        ; implicit-def: $vgpr50_vgpr51
                                        ; implicit-def: $vgpr46_vgpr47
	s_delay_alu instid0(VALU_DEP_4) | instskip(NEXT) | instid1(VALU_DEP_4)
	v_mad_u32_u24 v41, 0x320, v41, 0
	v_mad_u32_u24 v42, 0x320, v42, 0
	s_delay_alu instid0(VALU_DEP_2) | instskip(NEXT) | instid1(VALU_DEP_2)
	v_add3_u32 v41, v41, v43, v40
	v_add3_u32 v40, v42, v45, v40
	ds_store_b128 v41, v[0:3]
	ds_store_b128 v41, v[36:39] offset:160
	ds_store_b128 v41, v[16:19] offset:320
	;; [unrolled: 1-line block ×4, first 2 shown]
	ds_store_b128 v40, v[12:15]
	ds_store_b128 v40, v[32:35] offset:160
	ds_store_b128 v40, v[28:31] offset:320
	;; [unrolled: 1-line block ×4, first 2 shown]
	global_wb scope:SCOPE_SE
	s_wait_dscnt 0x0
	s_barrier_signal -1
	s_barrier_wait -1
	global_inv scope:SCOPE_SE
                                        ; implicit-def: $vgpr42_vgpr43
	s_and_saveexec_b32 s1, s0
	s_cbranch_execnz .LBB0_15
; %bb.13:
	s_wait_alu 0xfffe
	s_or_b32 exec_lo, exec_lo, s1
	s_and_b32 s0, vcc_lo, s0
	s_wait_alu 0xfffe
	s_and_saveexec_b32 s1, s0
	s_cbranch_execnz .LBB0_16
.LBB0_14:
	s_endpgm
.LBB0_15:
	ds_load_b128 v[0:3], v44
	ds_load_b128 v[36:39], v48 offset:800
	ds_load_b128 v[16:19], v48 offset:1600
	;; [unrolled: 1-line block ×12, first 2 shown]
	s_wait_alu 0xfffe
	s_or_b32 exec_lo, exec_lo, s1
	s_and_b32 s0, vcc_lo, s0
	s_wait_alu 0xfffe
	s_and_saveexec_b32 s1, s0
	s_cbranch_execz .LBB0_14
.LBB0_16:
	v_mul_u32_u24_e32 v52, 12, v64
	s_mov_b32 s0, 0xe00740e9
	s_mov_b32 s1, 0x3fec55a7
	;; [unrolled: 1-line block ×4, first 2 shown]
	v_lshlrev_b32_e32 v65, 4, v52
	s_mov_b32 s24, 0x42a4c3d2
	s_mov_b32 s25, 0xbfea55e2
	;; [unrolled: 1-line block ×4, first 2 shown]
	s_clause 0x1
	global_load_b128 v[56:59], v65, s[4:5] offset:640
	global_load_b128 v[52:55], v65, s[4:5] offset:656
	s_mov_b32 s12, 0x66966769
	s_mov_b32 s13, 0xbfefc445
	;; [unrolled: 1-line block ×7, first 2 shown]
	s_wait_alu 0xfffe
	s_mov_b32 s28, s22
	s_mov_b32 s14, 0x24c2f84
	;; [unrolled: 1-line block ×4, first 2 shown]
	s_wait_alu 0xfffe
	s_mov_b32 s26, s14
	s_mov_b32 s16, 0x93053d00
	;; [unrolled: 1-line block ×6, first 2 shown]
	s_wait_alu 0xfffe
	s_mov_b32 s30, s20
	v_add_nc_u32_e32 v85, 50, v64
	s_mov_b32 s35, 0x3fefc445
	s_mov_b32 s34, s12
	;; [unrolled: 1-line block ×4, first 2 shown]
	v_add_nc_u32_e32 v109, 0x64, v64
	v_add_nc_u32_e32 v133, 0x96, v64
	s_mov_b32 s39, 0x3fea55e2
	s_mov_b32 s38, s24
	v_add_nc_u32_e32 v157, 0xc8, v64
	v_add_nc_u32_e32 v181, 0xfa, v64
	s_wait_loadcnt_dscnt 0x10b
	v_mul_f64_e32 v[62:63], v[38:39], v[56:57]
	v_mul_f64_e32 v[38:39], v[38:39], v[58:59]
	s_delay_alu instid0(VALU_DEP_2) | instskip(NEXT) | instid1(VALU_DEP_2)
	v_fma_f64 v[62:63], v[36:37], v[58:59], v[62:63]
	v_fma_f64 v[36:37], v[36:37], v[56:57], -v[38:39]
	s_clause 0x1
	global_load_b128 v[56:59], v65, s[4:5] offset:816
	global_load_b128 v[66:69], v65, s[4:5] offset:800
	s_wait_loadcnt_dscnt 0x100
	v_mul_f64_e32 v[38:39], v[50:51], v[56:57]
	v_mul_f64_e32 v[50:51], v[50:51], v[58:59]
	s_delay_alu instid0(VALU_DEP_2) | instskip(NEXT) | instid1(VALU_DEP_2)
	v_fma_f64 v[38:39], v[48:49], v[58:59], v[38:39]
	v_fma_f64 v[48:49], v[48:49], v[56:57], -v[50:51]
	v_mul_f64_e32 v[50:51], v[18:19], v[52:53]
	v_mul_f64_e32 v[18:19], v[18:19], v[54:55]
	s_delay_alu instid0(VALU_DEP_2) | instskip(NEXT) | instid1(VALU_DEP_2)
	v_fma_f64 v[50:51], v[16:17], v[54:55], v[50:51]
	v_fma_f64 v[16:17], v[16:17], v[52:53], -v[18:19]
	s_clause 0x1
	global_load_b128 v[52:55], v65, s[4:5] offset:720
	global_load_b128 v[56:59], v65, s[4:5] offset:704
	s_wait_loadcnt 0x2
	v_mul_f64_e32 v[18:19], v[46:47], v[66:67]
	v_mul_f64_e32 v[46:47], v[46:47], v[68:69]
	s_delay_alu instid0(VALU_DEP_2) | instskip(NEXT) | instid1(VALU_DEP_2)
	v_fma_f64 v[18:19], v[44:45], v[68:69], v[18:19]
	v_fma_f64 v[46:47], v[44:45], v[66:67], -v[46:47]
	s_wait_loadcnt 0x1
	v_mul_f64_e32 v[44:45], v[34:35], v[52:53]
	v_mul_f64_e32 v[34:35], v[34:35], v[54:55]
	s_delay_alu instid0(VALU_DEP_2) | instskip(NEXT) | instid1(VALU_DEP_2)
	v_fma_f64 v[44:45], v[32:33], v[54:55], v[44:45]
	v_fma_f64 v[32:33], v[32:33], v[52:53], -v[34:35]
	s_clause 0x1
	global_load_b128 v[52:55], v65, s[4:5] offset:736
	global_load_b128 v[66:69], v65, s[4:5] offset:752
	s_wait_loadcnt 0x1
	v_mul_f64_e32 v[34:35], v[30:31], v[52:53]
	v_mul_f64_e32 v[30:31], v[30:31], v[54:55]
	s_delay_alu instid0(VALU_DEP_2) | instskip(NEXT) | instid1(VALU_DEP_2)
	v_fma_f64 v[34:35], v[28:29], v[54:55], v[34:35]
	v_fma_f64 v[28:29], v[28:29], v[52:53], -v[30:31]
	v_mul_f64_e32 v[30:31], v[14:15], v[56:57]
	v_mul_f64_e32 v[14:15], v[14:15], v[58:59]
	s_delay_alu instid0(VALU_DEP_2) | instskip(NEXT) | instid1(VALU_DEP_2)
	v_fma_f64 v[30:31], v[12:13], v[58:59], v[30:31]
	v_fma_f64 v[12:13], v[12:13], v[56:57], -v[14:15]
	s_clause 0x1
	global_load_b128 v[52:55], v65, s[4:5] offset:688
	global_load_b128 v[56:59], v65, s[4:5] offset:672
	s_wait_loadcnt 0x2
	v_mul_f64_e32 v[14:15], v[26:27], v[66:67]
	v_mul_f64_e32 v[26:27], v[26:27], v[68:69]
	s_delay_alu instid0(VALU_DEP_2) | instskip(NEXT) | instid1(VALU_DEP_2)
	v_fma_f64 v[14:15], v[24:25], v[68:69], v[14:15]
	v_fma_f64 v[24:25], v[24:25], v[66:67], -v[26:27]
	s_wait_loadcnt 0x1
	v_mul_f64_e32 v[26:27], v[10:11], v[52:53]
	v_mul_f64_e32 v[10:11], v[10:11], v[54:55]
	s_delay_alu instid0(VALU_DEP_2) | instskip(NEXT) | instid1(VALU_DEP_2)
	v_fma_f64 v[26:27], v[8:9], v[54:55], v[26:27]
	v_fma_f64 v[66:67], v[8:9], v[52:53], -v[10:11]
	s_clause 0x1
	global_load_b128 v[8:11], v65, s[4:5] offset:768
	global_load_b128 v[52:55], v65, s[4:5] offset:784
	s_mov_b32 s4, 0x1ea71119
	s_mov_b32 s5, 0x3fe22d96
	s_wait_loadcnt 0x1
	v_mul_f64_e32 v[68:69], v[22:23], v[8:9]
	s_delay_alu instid0(VALU_DEP_1) | instskip(SKIP_1) | instid1(VALU_DEP_1)
	v_fma_f64 v[68:69], v[20:21], v[10:11], v[68:69]
	v_mul_f64_e32 v[10:11], v[22:23], v[10:11]
	v_fma_f64 v[10:11], v[20:21], v[8:9], -v[10:11]
	v_mul_f64_e32 v[8:9], v[6:7], v[56:57]
	v_mul_f64_e32 v[6:7], v[6:7], v[58:59]
	s_delay_alu instid0(VALU_DEP_2) | instskip(NEXT) | instid1(VALU_DEP_2)
	v_fma_f64 v[20:21], v[4:5], v[58:59], v[8:9]
	v_fma_f64 v[22:23], v[4:5], v[56:57], -v[6:7]
	s_wait_loadcnt 0x0
	v_mul_f64_e32 v[4:5], v[42:43], v[52:53]
	v_add_f64_e32 v[6:7], v[0:1], v[36:37]
	v_add_f64_e32 v[58:59], v[66:67], v[10:11]
	s_delay_alu instid0(VALU_DEP_3) | instskip(SKIP_1) | instid1(VALU_DEP_4)
	v_fma_f64 v[56:57], v[40:41], v[54:55], v[4:5]
	v_mul_f64_e32 v[4:5], v[42:43], v[54:55]
	v_add_f64_e32 v[6:7], v[16:17], v[6:7]
	v_mad_co_u64_u32 v[42:43], null, s8, v64, 0
	s_delay_alu instid0(VALU_DEP_3) | instskip(SKIP_1) | instid1(VALU_DEP_4)
	v_fma_f64 v[40:41], v[40:41], v[52:53], -v[4:5]
	v_add_f64_e32 v[4:5], v[2:3], v[62:63]
	v_add_f64_e32 v[6:7], v[22:23], v[6:7]
	v_add_f64_e64 v[52:53], v[36:37], -v[48:49]
	v_add_f64_e32 v[36:37], v[36:37], v[48:49]
	v_add_f64_e64 v[54:55], v[22:23], -v[40:41]
	v_add_f64_e32 v[4:5], v[50:51], v[4:5]
	v_add_f64_e32 v[6:7], v[66:67], v[6:7]
	v_add_f64_e32 v[22:23], v[22:23], v[40:41]
	s_delay_alu instid0(VALU_DEP_3) | instskip(NEXT) | instid1(VALU_DEP_3)
	v_add_f64_e32 v[4:5], v[20:21], v[4:5]
	v_add_f64_e32 v[6:7], v[12:13], v[6:7]
	s_delay_alu instid0(VALU_DEP_2) | instskip(NEXT) | instid1(VALU_DEP_2)
	v_add_f64_e32 v[4:5], v[26:27], v[4:5]
	v_add_f64_e32 v[6:7], v[32:33], v[6:7]
	s_delay_alu instid0(VALU_DEP_2) | instskip(NEXT) | instid1(VALU_DEP_2)
	;; [unrolled: 3-line block ×5, first 2 shown]
	v_add_f64_e32 v[4:5], v[14:15], v[4:5]
	v_add_f64_e32 v[6:7], v[40:41], v[6:7]
	;; [unrolled: 1-line block ×3, first 2 shown]
	v_add_f64_e64 v[26:27], v[26:27], -v[68:69]
	s_delay_alu instid0(VALU_DEP_4) | instskip(NEXT) | instid1(VALU_DEP_4)
	v_add_f64_e32 v[4:5], v[68:69], v[4:5]
	v_add_f64_e32 v[6:7], v[46:47], v[6:7]
	s_delay_alu instid0(VALU_DEP_2) | instskip(NEXT) | instid1(VALU_DEP_2)
	v_add_f64_e32 v[4:5], v[56:57], v[4:5]
	v_add_f64_e32 v[6:7], v[48:49], v[6:7]
	;; [unrolled: 1-line block ×3, first 2 shown]
	s_delay_alu instid0(VALU_DEP_3)
	v_add_f64_e32 v[4:5], v[18:19], v[4:5]
	v_add_f64_e64 v[18:19], v[50:51], -v[18:19]
	v_add_f64_e64 v[50:51], v[16:17], -v[46:47]
	v_add_f64_e32 v[46:47], v[16:17], v[46:47]
	v_add_f64_e32 v[16:17], v[20:21], v[56:57]
	v_add_f64_e64 v[20:21], v[20:21], -v[56:57]
	v_add_f64_e64 v[56:57], v[66:67], -v[10:11]
	v_add_f64_e32 v[10:11], v[44:45], v[34:35]
	v_add_f64_e64 v[34:35], v[44:45], -v[34:35]
	v_add_f64_e64 v[44:45], v[32:33], -v[28:29]
	v_add_f64_e32 v[28:29], v[32:33], v[28:29]
	v_add_f64_e32 v[32:33], v[30:31], v[14:15]
	v_add_f64_e64 v[14:15], v[30:31], -v[14:15]
	v_add_f64_e64 v[30:31], v[12:13], -v[24:25]
	v_add_f64_e32 v[24:25], v[12:13], v[24:25]
	v_add_f64_e32 v[8:9], v[38:39], v[4:5]
	v_mov_b32_e32 v4, v43
	v_mul_f64_e32 v[65:66], s[24:25], v[18:19]
	v_mul_f64_e32 v[89:90], s[28:29], v[18:19]
	;; [unrolled: 1-line block ×4, first 2 shown]
	v_mad_co_u64_u32 v[4:5], null, s9, v64, v[4:5]
	v_mul_f64_e32 v[81:82], s[16:17], v[10:11]
	v_mul_f64_e32 v[83:84], s[30:31], v[34:35]
	;; [unrolled: 1-line block ×6, first 2 shown]
	v_mov_b32_e32 v43, v4
	v_add_co_u32 v4, vcc_lo, s10, v60
	s_wait_alu 0xfffd
	v_add_co_ci_u32_e32 v5, vcc_lo, s11, v61, vcc_lo
	s_delay_alu instid0(VALU_DEP_3)
	v_lshlrev_b64_e32 v[42:43], 4, v[42:43]
	v_mul_f64_e32 v[60:61], s[4:5], v[48:49]
	s_mov_b32 s10, 0xd0032e0c
	s_mov_b32 s11, 0xbfe7f3cc
	v_mul_f64_e32 v[155:156], s[38:39], v[34:35]
	s_wait_alu 0xfffe
	v_mul_f64_e32 v[129:130], s[10:11], v[10:11]
	v_add_co_u32 v42, vcc_lo, v4, v42
	s_wait_alu 0xfffd
	v_add_co_ci_u32_e32 v43, vcc_lo, v5, v43, vcc_lo
	v_mul_f64_e32 v[161:162], s[34:35], v[18:19]
	v_mul_f64_e32 v[177:178], s[18:19], v[10:11]
	v_mul_f64_e32 v[179:180], s[28:29], v[34:35]
	v_mul_f64_e32 v[10:11], s[6:7], v[10:11]
	v_mul_f64_e32 v[34:35], s[34:35], v[34:35]
	global_store_b128 v[42:43], v[6:9], off
	v_add_f64_e32 v[42:43], v[62:63], v[38:39]
	v_add_f64_e64 v[38:39], v[62:63], -v[38:39]
	v_fma_f64 v[67:68], v[46:47], s[4:5], -v[65:66]
	v_fma_f64 v[91:92], v[46:47], s[18:19], -v[89:90]
	;; [unrolled: 1-line block ×4, first 2 shown]
	v_fma_f64 v[8:9], v[50:51], s[24:25], v[60:61]
	v_fma_f64 v[163:164], v[46:47], s[6:7], -v[161:162]
	v_mul_f64_e32 v[12:13], s[0:1], v[42:43]
	v_mul_f64_e32 v[62:63], s[2:3], v[38:39]
	;; [unrolled: 1-line block ×7, first 2 shown]
	v_fma_f64 v[6:7], v[52:53], s[2:3], v[12:13]
	v_fma_f64 v[12:13], v[52:53], s[36:37], v[12:13]
	s_delay_alu instid0(VALU_DEP_2) | instskip(NEXT) | instid1(VALU_DEP_1)
	v_add_f64_e32 v[6:7], v[2:3], v[6:7]
	v_add_f64_e32 v[6:7], v[8:9], v[6:7]
	v_fma_f64 v[8:9], v[36:37], s[0:1], -v[62:63]
	s_delay_alu instid0(VALU_DEP_1) | instskip(NEXT) | instid1(VALU_DEP_1)
	v_add_f64_e32 v[8:9], v[0:1], v[8:9]
	v_add_f64_e32 v[8:9], v[67:68], v[8:9]
	v_mul_f64_e32 v[67:68], s[6:7], v[16:17]
	s_delay_alu instid0(VALU_DEP_1) | instskip(NEXT) | instid1(VALU_DEP_1)
	v_fma_f64 v[69:70], v[54:55], s[12:13], v[67:68]
	v_add_f64_e32 v[6:7], v[69:70], v[6:7]
	v_mul_f64_e32 v[69:70], s[12:13], v[20:21]
	s_delay_alu instid0(VALU_DEP_1) | instskip(NEXT) | instid1(VALU_DEP_1)
	v_fma_f64 v[71:72], v[22:23], s[6:7], -v[69:70]
	v_add_f64_e32 v[8:9], v[71:72], v[8:9]
	v_mul_f64_e32 v[71:72], s[18:19], v[40:41]
	s_delay_alu instid0(VALU_DEP_1) | instskip(NEXT) | instid1(VALU_DEP_1)
	v_fma_f64 v[73:74], v[56:57], s[28:29], v[71:72]
	v_add_f64_e32 v[6:7], v[73:74], v[6:7]
	v_mul_f64_e32 v[73:74], s[28:29], v[26:27]
	s_delay_alu instid0(VALU_DEP_1) | instskip(NEXT) | instid1(VALU_DEP_1)
	v_fma_f64 v[75:76], v[58:59], s[18:19], -v[73:74]
	v_add_f64_e32 v[8:9], v[75:76], v[8:9]
	v_mul_f64_e32 v[75:76], s[10:11], v[32:33]
	s_delay_alu instid0(VALU_DEP_1) | instskip(NEXT) | instid1(VALU_DEP_1)
	v_fma_f64 v[77:78], v[30:31], s[26:27], v[75:76]
	v_add_f64_e32 v[6:7], v[77:78], v[6:7]
	v_mul_f64_e32 v[77:78], s[26:27], v[14:15]
	s_delay_alu instid0(VALU_DEP_1) | instskip(NEXT) | instid1(VALU_DEP_1)
	v_fma_f64 v[79:80], v[24:25], s[10:11], -v[77:78]
	v_add_f64_e32 v[79:80], v[79:80], v[8:9]
	v_fma_f64 v[8:9], v[44:45], s[30:31], v[81:82]
	s_delay_alu instid0(VALU_DEP_1) | instskip(SKIP_1) | instid1(VALU_DEP_1)
	v_add_f64_e32 v[8:9], v[8:9], v[6:7]
	v_fma_f64 v[6:7], v[28:29], s[16:17], -v[83:84]
	v_add_f64_e32 v[6:7], v[6:7], v[79:80]
	v_mad_co_u64_u32 v[79:80], null, s8, v85, 0
	s_delay_alu instid0(VALU_DEP_1) | instskip(NEXT) | instid1(VALU_DEP_1)
	v_mad_co_u64_u32 v[85:86], null, s9, v85, v[80:81]
	v_mov_b32_e32 v80, v85
	v_mul_f64_e32 v[85:86], s[18:19], v[48:49]
	s_delay_alu instid0(VALU_DEP_2) | instskip(NEXT) | instid1(VALU_DEP_1)
	v_lshlrev_b64_e32 v[79:80], 4, v[79:80]
	v_add_co_u32 v79, vcc_lo, v4, v79
	s_wait_alu 0xfffd
	s_delay_alu instid0(VALU_DEP_2) | instskip(SKIP_3) | instid1(VALU_DEP_2)
	v_add_co_ci_u32_e32 v80, vcc_lo, v5, v80, vcc_lo
	global_store_b128 v[79:80], v[6:9], off
	v_mul_f64_e32 v[79:80], s[4:5], v[42:43]
	v_fma_f64 v[8:9], v[50:51], s[28:29], v[85:86]
	v_fma_f64 v[6:7], v[52:53], s[24:25], v[79:80]
	v_fma_f64 v[79:80], v[52:53], s[38:39], v[79:80]
	s_delay_alu instid0(VALU_DEP_2) | instskip(NEXT) | instid1(VALU_DEP_2)
	v_add_f64_e32 v[6:7], v[2:3], v[6:7]
	v_add_f64_e32 v[79:80], v[2:3], v[79:80]
	s_delay_alu instid0(VALU_DEP_2) | instskip(SKIP_2) | instid1(VALU_DEP_2)
	v_add_f64_e32 v[6:7], v[8:9], v[6:7]
	v_fma_f64 v[8:9], v[36:37], s[4:5], -v[87:88]
	v_fma_f64 v[87:88], v[36:37], s[4:5], v[87:88]
	v_add_f64_e32 v[8:9], v[0:1], v[8:9]
	s_delay_alu instid0(VALU_DEP_2) | instskip(NEXT) | instid1(VALU_DEP_2)
	v_add_f64_e32 v[87:88], v[0:1], v[87:88]
	v_add_f64_e32 v[8:9], v[91:92], v[8:9]
	v_mul_f64_e32 v[91:92], s[16:17], v[16:17]
	s_delay_alu instid0(VALU_DEP_1) | instskip(NEXT) | instid1(VALU_DEP_1)
	v_fma_f64 v[93:94], v[54:55], s[30:31], v[91:92]
	v_add_f64_e32 v[6:7], v[93:94], v[6:7]
	v_mul_f64_e32 v[93:94], s[30:31], v[20:21]
	s_delay_alu instid0(VALU_DEP_1) | instskip(NEXT) | instid1(VALU_DEP_1)
	v_fma_f64 v[95:96], v[22:23], s[16:17], -v[93:94]
	v_add_f64_e32 v[8:9], v[95:96], v[8:9]
	v_mul_f64_e32 v[95:96], s[10:11], v[40:41]
	s_delay_alu instid0(VALU_DEP_1) | instskip(NEXT) | instid1(VALU_DEP_1)
	v_fma_f64 v[97:98], v[56:57], s[14:15], v[95:96]
	v_add_f64_e32 v[6:7], v[97:98], v[6:7]
	v_mul_f64_e32 v[97:98], s[14:15], v[26:27]
	s_delay_alu instid0(VALU_DEP_1) | instskip(NEXT) | instid1(VALU_DEP_1)
	v_fma_f64 v[99:100], v[58:59], s[10:11], -v[97:98]
	v_add_f64_e32 v[8:9], v[99:100], v[8:9]
	v_mul_f64_e32 v[99:100], s[6:7], v[32:33]
	s_delay_alu instid0(VALU_DEP_1) | instskip(NEXT) | instid1(VALU_DEP_1)
	v_fma_f64 v[101:102], v[30:31], s[34:35], v[99:100]
	v_add_f64_e32 v[6:7], v[101:102], v[6:7]
	v_mul_f64_e32 v[101:102], s[34:35], v[14:15]
	s_delay_alu instid0(VALU_DEP_1) | instskip(NEXT) | instid1(VALU_DEP_1)
	v_fma_f64 v[103:104], v[24:25], s[6:7], -v[101:102]
	v_add_f64_e32 v[103:104], v[103:104], v[8:9]
	v_fma_f64 v[8:9], v[44:45], s[36:37], v[105:106]
	s_delay_alu instid0(VALU_DEP_1) | instskip(SKIP_1) | instid1(VALU_DEP_1)
	v_add_f64_e32 v[8:9], v[8:9], v[6:7]
	v_fma_f64 v[6:7], v[28:29], s[0:1], -v[107:108]
	v_add_f64_e32 v[6:7], v[6:7], v[103:104]
	v_mad_co_u64_u32 v[103:104], null, s8, v109, 0
	s_delay_alu instid0(VALU_DEP_1) | instskip(NEXT) | instid1(VALU_DEP_1)
	v_mad_co_u64_u32 v[109:110], null, s9, v109, v[104:105]
	v_mov_b32_e32 v104, v109
	v_mul_f64_e32 v[109:110], s[16:17], v[48:49]
	s_delay_alu instid0(VALU_DEP_2) | instskip(NEXT) | instid1(VALU_DEP_1)
	v_lshlrev_b64_e32 v[103:104], 4, v[103:104]
	v_add_co_u32 v103, vcc_lo, v4, v103
	s_wait_alu 0xfffd
	s_delay_alu instid0(VALU_DEP_2) | instskip(SKIP_3) | instid1(VALU_DEP_2)
	v_add_co_ci_u32_e32 v104, vcc_lo, v5, v104, vcc_lo
	global_store_b128 v[103:104], v[6:9], off
	v_mul_f64_e32 v[103:104], s[6:7], v[42:43]
	v_fma_f64 v[8:9], v[50:51], s[30:31], v[109:110]
	v_fma_f64 v[6:7], v[52:53], s[12:13], v[103:104]
	v_fma_f64 v[103:104], v[52:53], s[34:35], v[103:104]
	s_delay_alu instid0(VALU_DEP_2) | instskip(NEXT) | instid1(VALU_DEP_2)
	v_add_f64_e32 v[6:7], v[2:3], v[6:7]
	v_add_f64_e32 v[103:104], v[2:3], v[103:104]
	s_delay_alu instid0(VALU_DEP_2) | instskip(SKIP_2) | instid1(VALU_DEP_2)
	v_add_f64_e32 v[6:7], v[8:9], v[6:7]
	v_fma_f64 v[8:9], v[36:37], s[6:7], -v[111:112]
	v_fma_f64 v[111:112], v[36:37], s[6:7], v[111:112]
	v_add_f64_e32 v[8:9], v[0:1], v[8:9]
	s_delay_alu instid0(VALU_DEP_2) | instskip(NEXT) | instid1(VALU_DEP_2)
	;; [unrolled: 56-line block ×3, first 2 shown]
	v_add_f64_e32 v[135:136], v[0:1], v[135:136]
	v_add_f64_e32 v[8:9], v[139:140], v[8:9]
	v_mul_f64_e32 v[139:140], s[0:1], v[16:17]
	s_delay_alu instid0(VALU_DEP_1) | instskip(NEXT) | instid1(VALU_DEP_1)
	v_fma_f64 v[141:142], v[54:55], s[36:37], v[139:140]
	v_add_f64_e32 v[6:7], v[141:142], v[6:7]
	v_mul_f64_e32 v[141:142], s[36:37], v[20:21]
	s_delay_alu instid0(VALU_DEP_1) | instskip(NEXT) | instid1(VALU_DEP_1)
	v_fma_f64 v[143:144], v[22:23], s[0:1], -v[141:142]
	v_add_f64_e32 v[8:9], v[143:144], v[8:9]
	v_mul_f64_e32 v[143:144], s[6:7], v[40:41]
	s_delay_alu instid0(VALU_DEP_1) | instskip(NEXT) | instid1(VALU_DEP_1)
	v_fma_f64 v[145:146], v[56:57], s[12:13], v[143:144]
	v_add_f64_e32 v[6:7], v[145:146], v[6:7]
	v_mul_f64_e32 v[145:146], s[12:13], v[26:27]
	s_delay_alu instid0(VALU_DEP_1) | instskip(NEXT) | instid1(VALU_DEP_1)
	v_fma_f64 v[147:148], v[58:59], s[6:7], -v[145:146]
	;; [unrolled: 8-line block ×3, first 2 shown]
	v_add_f64_e32 v[151:152], v[151:152], v[8:9]
	v_fma_f64 v[8:9], v[44:45], s[38:39], v[153:154]
	s_delay_alu instid0(VALU_DEP_1) | instskip(SKIP_1) | instid1(VALU_DEP_1)
	v_add_f64_e32 v[8:9], v[8:9], v[6:7]
	v_fma_f64 v[6:7], v[28:29], s[4:5], -v[155:156]
	v_add_f64_e32 v[6:7], v[6:7], v[151:152]
	v_mad_co_u64_u32 v[151:152], null, s8, v157, 0
	s_delay_alu instid0(VALU_DEP_1) | instskip(NEXT) | instid1(VALU_DEP_1)
	v_mad_co_u64_u32 v[157:158], null, s9, v157, v[152:153]
	v_mov_b32_e32 v152, v157
	v_mul_f64_e32 v[157:158], s[6:7], v[48:49]
	s_delay_alu instid0(VALU_DEP_2) | instskip(NEXT) | instid1(VALU_DEP_1)
	v_lshlrev_b64_e32 v[151:152], 4, v[151:152]
	v_add_co_u32 v151, vcc_lo, v4, v151
	s_wait_alu 0xfffd
	s_delay_alu instid0(VALU_DEP_2) | instskip(SKIP_3) | instid1(VALU_DEP_2)
	v_add_co_ci_u32_e32 v152, vcc_lo, v5, v152, vcc_lo
	global_store_b128 v[151:152], v[6:9], off
	v_mul_f64_e32 v[151:152], s[10:11], v[42:43]
	v_fma_f64 v[8:9], v[50:51], s[34:35], v[157:158]
	v_fma_f64 v[6:7], v[52:53], s[26:27], v[151:152]
	s_delay_alu instid0(VALU_DEP_1) | instskip(NEXT) | instid1(VALU_DEP_1)
	v_add_f64_e32 v[6:7], v[2:3], v[6:7]
	v_add_f64_e32 v[6:7], v[8:9], v[6:7]
	v_fma_f64 v[8:9], v[36:37], s[10:11], -v[159:160]
	s_delay_alu instid0(VALU_DEP_1) | instskip(NEXT) | instid1(VALU_DEP_1)
	v_add_f64_e32 v[8:9], v[0:1], v[8:9]
	v_add_f64_e32 v[8:9], v[163:164], v[8:9]
	v_mul_f64_e32 v[163:164], s[4:5], v[16:17]
	v_mul_f64_e32 v[16:17], s[10:11], v[16:17]
	s_delay_alu instid0(VALU_DEP_2) | instskip(NEXT) | instid1(VALU_DEP_1)
	v_fma_f64 v[165:166], v[54:55], s[24:25], v[163:164]
	v_add_f64_e32 v[6:7], v[165:166], v[6:7]
	v_mul_f64_e32 v[165:166], s[24:25], v[20:21]
	s_delay_alu instid0(VALU_DEP_1) | instskip(NEXT) | instid1(VALU_DEP_1)
	v_fma_f64 v[167:168], v[22:23], s[4:5], -v[165:166]
	v_add_f64_e32 v[8:9], v[167:168], v[8:9]
	v_mul_f64_e32 v[167:168], s[16:17], v[40:41]
	s_delay_alu instid0(VALU_DEP_1) | instskip(NEXT) | instid1(VALU_DEP_1)
	v_fma_f64 v[169:170], v[56:57], s[20:21], v[167:168]
	v_add_f64_e32 v[6:7], v[169:170], v[6:7]
	v_mul_f64_e32 v[169:170], s[20:21], v[26:27]
	v_mul_f64_e32 v[26:27], s[38:39], v[26:27]
	s_delay_alu instid0(VALU_DEP_2) | instskip(NEXT) | instid1(VALU_DEP_1)
	v_fma_f64 v[171:172], v[58:59], s[16:17], -v[169:170]
	v_add_f64_e32 v[8:9], v[171:172], v[8:9]
	v_mul_f64_e32 v[171:172], s[0:1], v[32:33]
	v_mul_f64_e32 v[32:33], s[18:19], v[32:33]
	s_delay_alu instid0(VALU_DEP_2) | instskip(NEXT) | instid1(VALU_DEP_1)
	v_fma_f64 v[173:174], v[30:31], s[36:37], v[171:172]
	v_add_f64_e32 v[6:7], v[173:174], v[6:7]
	v_mul_f64_e32 v[173:174], s[36:37], v[14:15]
	v_mul_f64_e32 v[14:15], s[28:29], v[14:15]
	s_delay_alu instid0(VALU_DEP_2) | instskip(NEXT) | instid1(VALU_DEP_1)
	v_fma_f64 v[175:176], v[24:25], s[0:1], -v[173:174]
	v_add_f64_e32 v[175:176], v[175:176], v[8:9]
	v_fma_f64 v[8:9], v[44:45], s[28:29], v[177:178]
	s_delay_alu instid0(VALU_DEP_1) | instskip(SKIP_1) | instid1(VALU_DEP_1)
	v_add_f64_e32 v[8:9], v[8:9], v[6:7]
	v_fma_f64 v[6:7], v[28:29], s[18:19], -v[179:180]
	v_add_f64_e32 v[6:7], v[6:7], v[175:176]
	v_mad_co_u64_u32 v[175:176], null, s8, v181, 0
	s_delay_alu instid0(VALU_DEP_1) | instskip(NEXT) | instid1(VALU_DEP_1)
	v_mad_co_u64_u32 v[181:182], null, s9, v181, v[176:177]
	v_mov_b32_e32 v176, v181
	s_delay_alu instid0(VALU_DEP_1) | instskip(NEXT) | instid1(VALU_DEP_1)
	v_lshlrev_b64_e32 v[175:176], 4, v[175:176]
	v_add_co_u32 v175, vcc_lo, v4, v175
	s_wait_alu 0xfffd
	s_delay_alu instid0(VALU_DEP_2) | instskip(SKIP_4) | instid1(VALU_DEP_3)
	v_add_co_ci_u32_e32 v176, vcc_lo, v5, v176, vcc_lo
	global_store_b128 v[175:176], v[6:9], off
	v_mul_f64_e32 v[6:7], s[16:17], v[42:43]
	v_fma_f64 v[42:43], v[52:53], s[14:15], v[151:152]
	v_fma_f64 v[151:152], v[36:37], s[10:11], v[159:160]
	v_fma_f64 v[8:9], v[52:53], s[20:21], v[6:7]
	v_fma_f64 v[6:7], v[52:53], s[30:31], v[6:7]
	v_fma_f64 v[52:53], v[36:37], s[16:17], v[38:39]
	v_fma_f64 v[38:39], v[36:37], s[16:17], -v[38:39]
	v_fma_f64 v[36:37], v[36:37], s[0:1], v[62:63]
	v_add_f64_e32 v[62:63], v[0:1], v[151:152]
	v_add_f64_e32 v[151:152], v[2:3], v[12:13]
	v_mul_f64_e32 v[12:13], s[0:1], v[48:49]
	v_add_f64_e32 v[42:43], v[2:3], v[42:43]
	v_fma_f64 v[48:49], v[22:23], s[18:19], v[117:118]
	v_add_f64_e32 v[8:9], v[2:3], v[8:9]
	v_add_f64_e32 v[6:7], v[2:3], v[6:7]
	;; [unrolled: 1-line block ×5, first 2 shown]
	v_fma_f64 v[0:1], v[50:51], s[2:3], v[12:13]
	v_fma_f64 v[12:13], v[50:51], s[36:37], v[12:13]
	s_delay_alu instid0(VALU_DEP_2) | instskip(SKIP_2) | instid1(VALU_DEP_4)
	v_add_f64_e32 v[0:1], v[0:1], v[8:9]
	v_mul_f64_e32 v[8:9], s[36:37], v[18:19]
	v_fma_f64 v[18:19], v[54:55], s[14:15], v[16:17]
	v_add_f64_e32 v[6:7], v[12:13], v[6:7]
	v_fma_f64 v[12:13], v[54:55], s[26:27], v[16:17]
	v_fma_f64 v[16:17], v[28:29], s[18:19], v[179:180]
	;; [unrolled: 1-line block ×3, first 2 shown]
	v_add_f64_e32 v[0:1], v[18:19], v[0:1]
	v_mul_f64_e32 v[18:19], s[26:27], v[20:21]
	v_fma_f64 v[8:9], v[46:47], s[0:1], -v[8:9]
	v_add_f64_e32 v[6:7], v[12:13], v[6:7]
	v_add_f64_e32 v[2:3], v[2:3], v[52:53]
	v_fma_f64 v[52:53], v[56:57], s[26:27], v[95:96]
	v_fma_f64 v[20:21], v[22:23], s[10:11], v[18:19]
	v_add_f64_e32 v[8:9], v[8:9], v[38:39]
	v_fma_f64 v[12:13], v[22:23], s[10:11], -v[18:19]
	v_fma_f64 v[18:19], v[54:55], s[2:3], v[139:140]
	v_fma_f64 v[38:39], v[46:47], s[4:5], v[65:66]
	v_add_f64_e32 v[2:3], v[20:21], v[2:3]
	v_mul_f64_e32 v[20:21], s[4:5], v[40:41]
	v_add_f64_e32 v[8:9], v[12:13], v[8:9]
	s_delay_alu instid0(VALU_DEP_4) | instskip(SKIP_1) | instid1(VALU_DEP_4)
	v_add_f64_e32 v[36:37], v[38:39], v[36:37]
	v_fma_f64 v[38:39], v[56:57], s[2:3], v[119:120]
	v_fma_f64 v[40:41], v[56:57], s[24:25], v[20:21]
	;; [unrolled: 1-line block ×4, first 2 shown]
	s_delay_alu instid0(VALU_DEP_3) | instskip(SKIP_1) | instid1(VALU_DEP_4)
	v_add_f64_e32 v[0:1], v[40:41], v[0:1]
	v_fma_f64 v[40:41], v[58:59], s[4:5], v[26:27]
	v_add_f64_e32 v[6:7], v[12:13], v[6:7]
	v_fma_f64 v[12:13], v[58:59], s[4:5], -v[26:27]
	v_fma_f64 v[26:27], v[50:51], s[38:39], v[60:61]
	s_delay_alu instid0(VALU_DEP_4) | instskip(SKIP_1) | instid1(VALU_DEP_4)
	v_add_f64_e32 v[2:3], v[40:41], v[2:3]
	v_fma_f64 v[40:41], v[30:31], s[22:23], v[32:33]
	v_add_f64_e32 v[8:9], v[12:13], v[8:9]
	v_fma_f64 v[12:13], v[30:31], s[28:29], v[32:33]
	v_fma_f64 v[32:33], v[46:47], s[16:17], v[113:114]
	v_add_f64_e32 v[26:27], v[26:27], v[151:152]
	v_add_f64_e32 v[0:1], v[40:41], v[0:1]
	v_fma_f64 v[40:41], v[24:25], s[18:19], v[14:15]
	v_add_f64_e32 v[6:7], v[12:13], v[6:7]
	v_fma_f64 v[12:13], v[24:25], s[18:19], -v[14:15]
	v_fma_f64 v[14:15], v[54:55], s[38:39], v[163:164]
	v_add_f64_e32 v[32:33], v[32:33], v[111:112]
	v_add_f64_e32 v[40:41], v[40:41], v[2:3]
	v_fma_f64 v[2:3], v[44:45], s[12:13], v[10:11]
	v_add_f64_e32 v[12:13], v[12:13], v[8:9]
	v_fma_f64 v[8:9], v[44:45], s[34:35], v[10:11]
	v_fma_f64 v[10:11], v[28:29], s[6:7], -v[34:35]
	v_add_f64_e32 v[32:33], v[48:49], v[32:33]
	v_fma_f64 v[48:49], v[58:59], s[18:19], v[73:74]
	v_add_f64_e32 v[2:3], v[2:3], v[0:1]
	v_fma_f64 v[0:1], v[28:29], s[6:7], v[34:35]
	v_add_f64_e32 v[8:9], v[8:9], v[6:7]
	v_add_f64_e32 v[6:7], v[10:11], v[12:13]
	v_fma_f64 v[10:11], v[50:51], s[12:13], v[157:158]
	v_fma_f64 v[12:13], v[46:47], s[6:7], v[161:162]
	;; [unrolled: 1-line block ×3, first 2 shown]
	v_add_f64_e32 v[0:1], v[0:1], v[40:41]
	v_fma_f64 v[40:41], v[54:55], s[28:29], v[115:116]
	v_add_f64_e32 v[10:11], v[10:11], v[42:43]
	v_add_f64_e32 v[12:13], v[12:13], v[62:63]
	v_fma_f64 v[42:43], v[54:55], s[20:21], v[91:92]
	v_add_f64_e32 v[34:35], v[34:35], v[87:88]
	s_delay_alu instid0(VALU_DEP_4) | instskip(SKIP_1) | instid1(VALU_DEP_1)
	v_add_f64_e32 v[10:11], v[14:15], v[10:11]
	v_fma_f64 v[14:15], v[22:23], s[4:5], v[165:166]
	v_add_f64_e32 v[12:13], v[14:15], v[12:13]
	v_fma_f64 v[14:15], v[56:57], s[30:31], v[167:168]
	s_delay_alu instid0(VALU_DEP_1) | instskip(SKIP_1) | instid1(VALU_DEP_1)
	v_add_f64_e32 v[10:11], v[14:15], v[10:11]
	v_fma_f64 v[14:15], v[58:59], s[16:17], v[169:170]
	v_add_f64_e32 v[12:13], v[14:15], v[12:13]
	v_fma_f64 v[14:15], v[30:31], s[2:3], v[171:172]
	s_delay_alu instid0(VALU_DEP_1) | instskip(SKIP_1) | instid1(VALU_DEP_1)
	v_add_f64_e32 v[10:11], v[14:15], v[10:11]
	v_fma_f64 v[14:15], v[24:25], s[0:1], v[173:174]
	v_add_f64_e32 v[14:15], v[14:15], v[12:13]
	v_fma_f64 v[12:13], v[44:45], s[22:23], v[177:178]
	s_delay_alu instid0(VALU_DEP_1) | instskip(NEXT) | instid1(VALU_DEP_3)
	v_add_f64_e32 v[12:13], v[12:13], v[10:11]
	v_add_f64_e32 v[10:11], v[16:17], v[14:15]
	v_fma_f64 v[14:15], v[50:51], s[26:27], v[133:134]
	v_fma_f64 v[16:17], v[46:47], s[10:11], v[137:138]
	;; [unrolled: 1-line block ×4, first 2 shown]
	s_delay_alu instid0(VALU_DEP_4) | instskip(NEXT) | instid1(VALU_DEP_4)
	v_add_f64_e32 v[14:15], v[14:15], v[127:128]
	v_add_f64_e32 v[16:17], v[16:17], v[135:136]
	s_delay_alu instid0(VALU_DEP_4) | instskip(SKIP_1) | instid1(VALU_DEP_4)
	v_add_f64_e32 v[26:27], v[46:47], v[26:27]
	v_fma_f64 v[46:47], v[30:31], s[12:13], v[99:100]
	v_add_f64_e32 v[14:15], v[18:19], v[14:15]
	v_fma_f64 v[18:19], v[22:23], s[0:1], v[141:142]
	s_delay_alu instid0(VALU_DEP_4) | instskip(NEXT) | instid1(VALU_DEP_2)
	v_add_f64_e32 v[26:27], v[54:55], v[26:27]
	v_add_f64_e32 v[16:17], v[18:19], v[16:17]
	v_fma_f64 v[18:19], v[56:57], s[34:35], v[143:144]
	s_delay_alu instid0(VALU_DEP_1) | instskip(SKIP_1) | instid1(VALU_DEP_1)
	v_add_f64_e32 v[14:15], v[18:19], v[14:15]
	v_fma_f64 v[18:19], v[58:59], s[6:7], v[145:146]
	v_add_f64_e32 v[16:17], v[18:19], v[16:17]
	v_fma_f64 v[18:19], v[30:31], s[30:31], v[147:148]
	s_delay_alu instid0(VALU_DEP_1) | instskip(SKIP_1) | instid1(VALU_DEP_1)
	v_add_f64_e32 v[14:15], v[18:19], v[14:15]
	v_fma_f64 v[18:19], v[24:25], s[16:17], v[149:150]
	v_add_f64_e32 v[18:19], v[18:19], v[16:17]
	v_fma_f64 v[16:17], v[44:45], s[24:25], v[153:154]
	s_delay_alu instid0(VALU_DEP_1) | instskip(NEXT) | instid1(VALU_DEP_3)
	v_add_f64_e32 v[16:17], v[16:17], v[14:15]
	v_add_f64_e32 v[14:15], v[20:21], v[18:19]
	v_fma_f64 v[18:19], v[50:51], s[20:21], v[109:110]
	v_fma_f64 v[20:21], v[50:51], s[22:23], v[85:86]
	;; [unrolled: 1-line block ×4, first 2 shown]
	s_delay_alu instid0(VALU_DEP_4) | instskip(NEXT) | instid1(VALU_DEP_4)
	v_add_f64_e32 v[18:19], v[18:19], v[103:104]
	v_add_f64_e32 v[20:21], v[20:21], v[79:80]
	s_delay_alu instid0(VALU_DEP_4) | instskip(NEXT) | instid1(VALU_DEP_4)
	v_add_f64_e32 v[34:35], v[50:51], v[34:35]
	v_add_f64_e32 v[22:23], v[22:23], v[36:37]
	v_fma_f64 v[36:37], v[30:31], s[38:39], v[123:124]
	v_fma_f64 v[30:31], v[30:31], s[14:15], v[75:76]
	v_add_f64_e32 v[18:19], v[40:41], v[18:19]
	v_add_f64_e32 v[20:21], v[42:43], v[20:21]
	v_fma_f64 v[40:41], v[58:59], s[0:1], v[121:122]
	v_fma_f64 v[42:43], v[58:59], s[10:11], v[97:98]
	v_add_f64_e32 v[22:23], v[48:49], v[22:23]
	v_fma_f64 v[48:49], v[44:45], s[2:3], v[105:106]
	v_add_f64_e32 v[26:27], v[30:31], v[26:27]
	v_add_f64_e32 v[18:19], v[38:39], v[18:19]
	;; [unrolled: 1-line block ×5, first 2 shown]
	v_fma_f64 v[40:41], v[24:25], s[6:7], v[101:102]
	v_fma_f64 v[38:39], v[24:25], s[4:5], v[125:126]
	;; [unrolled: 1-line block ×5, first 2 shown]
	v_add_f64_e32 v[18:19], v[36:37], v[18:19]
	v_add_f64_e32 v[36:37], v[46:47], v[20:21]
	v_fma_f64 v[46:47], v[28:29], s[16:17], v[83:84]
	v_add_f64_e32 v[34:35], v[40:41], v[34:35]
	v_fma_f64 v[40:41], v[28:29], s[0:1], v[107:108]
	;; [unrolled: 2-line block ×3, first 2 shown]
	v_add_f64_e32 v[30:31], v[24:25], v[22:23]
	v_add_f64_e32 v[28:29], v[44:45], v[26:27]
	v_add_nc_u32_e32 v44, 0x258, v64
	v_add_f64_e32 v[20:21], v[42:43], v[18:19]
	v_add_nc_u32_e32 v43, 0x190, v64
	v_add_f64_e32 v[24:25], v[48:49], v[36:37]
	v_add_f64_e32 v[22:23], v[40:41], v[34:35]
	s_delay_alu instid0(VALU_DEP_3) | instskip(SKIP_3) | instid1(VALU_DEP_3)
	v_mad_co_u64_u32 v[36:37], null, s8, v43, 0
	v_add_nc_u32_e32 v42, 0x15e, v64
	v_add_f64_e32 v[18:19], v[38:39], v[32:33]
	v_add_f64_e32 v[26:27], v[46:47], v[30:31]
	v_mad_co_u64_u32 v[34:35], null, s8, v42, 0
	s_delay_alu instid0(VALU_DEP_1) | instskip(NEXT) | instid1(VALU_DEP_1)
	v_dual_mov_b32 v31, v35 :: v_dual_add_nc_u32 v50, 0x12c, v64
	v_mad_co_u64_u32 v[32:33], null, s8, v50, 0
	s_delay_alu instid0(VALU_DEP_1) | instskip(NEXT) | instid1(VALU_DEP_1)
	v_mov_b32_e32 v30, v33
	v_mad_co_u64_u32 v[38:39], null, s9, v50, v[30:31]
	s_delay_alu instid0(VALU_DEP_3) | instskip(SKIP_1) | instid1(VALU_DEP_3)
	v_mad_co_u64_u32 v[30:31], null, s9, v42, v[31:32]
	v_dual_mov_b32 v31, v37 :: v_dual_add_nc_u32 v42, 0x226, v64
	v_mov_b32_e32 v33, v38
	s_delay_alu instid0(VALU_DEP_2) | instskip(SKIP_2) | instid1(VALU_DEP_2)
	v_mad_co_u64_u32 v[39:40], null, s9, v43, v[31:32]
	v_add_nc_u32_e32 v31, 0x1c2, v64
	v_mov_b32_e32 v35, v30
	v_mad_co_u64_u32 v[40:41], null, s8, v31, 0
	s_delay_alu instid0(VALU_DEP_4) | instskip(NEXT) | instid1(VALU_DEP_3)
	v_mov_b32_e32 v37, v39
	v_lshlrev_b64_e32 v[34:35], 4, v[34:35]
	s_delay_alu instid0(VALU_DEP_2) | instskip(NEXT) | instid1(VALU_DEP_4)
	v_lshlrev_b64_e32 v[36:37], 4, v[36:37]
	v_mov_b32_e32 v30, v41
	s_delay_alu instid0(VALU_DEP_1) | instskip(SKIP_1) | instid1(VALU_DEP_1)
	v_mad_co_u64_u32 v[30:31], null, s9, v31, v[30:31]
	v_add_nc_u32_e32 v31, 0x1f4, v64
	v_mad_co_u64_u32 v[38:39], null, s8, v31, 0
	s_delay_alu instid0(VALU_DEP_3) | instskip(NEXT) | instid1(VALU_DEP_1)
	v_mov_b32_e32 v41, v30
	v_lshlrev_b64_e32 v[40:41], 4, v[40:41]
	s_delay_alu instid0(VALU_DEP_3) | instskip(NEXT) | instid1(VALU_DEP_1)
	v_mov_b32_e32 v30, v39
	v_mad_co_u64_u32 v[30:31], null, s9, v31, v[30:31]
	s_delay_alu instid0(VALU_DEP_1) | instskip(SKIP_1) | instid1(VALU_DEP_2)
	v_mov_b32_e32 v39, v30
	v_mad_co_u64_u32 v[30:31], null, s8, v42, 0
	v_lshlrev_b64_e32 v[38:39], 4, v[38:39]
	s_delay_alu instid0(VALU_DEP_2) | instskip(SKIP_1) | instid1(VALU_DEP_2)
	v_mad_co_u64_u32 v[42:43], null, s9, v42, v[31:32]
	v_lshlrev_b64_e32 v[32:33], 4, v[32:33]
	v_mov_b32_e32 v31, v42
	v_mad_co_u64_u32 v[42:43], null, s8, v44, 0
	s_delay_alu instid0(VALU_DEP_3) | instskip(SKIP_1) | instid1(VALU_DEP_4)
	v_add_co_u32 v32, vcc_lo, v4, v32
	s_wait_alu 0xfffd
	v_add_co_ci_u32_e32 v33, vcc_lo, v5, v33, vcc_lo
	v_add_co_u32 v34, vcc_lo, v4, v34
	s_delay_alu instid0(VALU_DEP_4)
	v_mad_co_u64_u32 v[43:44], null, s9, v44, v[43:44]
	s_wait_alu 0xfffd
	v_add_co_ci_u32_e32 v35, vcc_lo, v5, v35, vcc_lo
	v_add_co_u32 v36, vcc_lo, v4, v36
	s_wait_alu 0xfffd
	v_add_co_ci_u32_e32 v37, vcc_lo, v5, v37, vcc_lo
	v_add_co_u32 v40, vcc_lo, v4, v40
	v_lshlrev_b64_e32 v[30:31], 4, v[30:31]
	s_wait_alu 0xfffd
	v_add_co_ci_u32_e32 v41, vcc_lo, v5, v41, vcc_lo
	v_add_co_u32 v38, vcc_lo, v4, v38
	v_lshlrev_b64_e32 v[42:43], 4, v[42:43]
	s_wait_alu 0xfffd
	v_add_co_ci_u32_e32 v39, vcc_lo, v5, v39, vcc_lo
	v_add_co_u32 v30, vcc_lo, v4, v30
	s_wait_alu 0xfffd
	v_add_co_ci_u32_e32 v31, vcc_lo, v5, v31, vcc_lo
	v_add_co_u32 v4, vcc_lo, v4, v42
	s_wait_alu 0xfffd
	v_add_co_ci_u32_e32 v5, vcc_lo, v5, v43, vcc_lo
	s_clause 0x6
	global_store_b128 v[32:33], v[6:9], off
	global_store_b128 v[34:35], v[0:3], off
	;; [unrolled: 1-line block ×7, first 2 shown]
	s_nop 0
	s_sendmsg sendmsg(MSG_DEALLOC_VGPRS)
	s_endpgm
	.section	.rodata,"a",@progbits
	.p2align	6, 0x0
	.amdhsa_kernel fft_rtc_fwd_len650_factors_10_5_13_wgs_195_tpt_65_dp_ip_CI_sbrr_dirReg
		.amdhsa_group_segment_fixed_size 0
		.amdhsa_private_segment_fixed_size 0
		.amdhsa_kernarg_size 88
		.amdhsa_user_sgpr_count 2
		.amdhsa_user_sgpr_dispatch_ptr 0
		.amdhsa_user_sgpr_queue_ptr 0
		.amdhsa_user_sgpr_kernarg_segment_ptr 1
		.amdhsa_user_sgpr_dispatch_id 0
		.amdhsa_user_sgpr_private_segment_size 0
		.amdhsa_wavefront_size32 1
		.amdhsa_uses_dynamic_stack 0
		.amdhsa_enable_private_segment 0
		.amdhsa_system_sgpr_workgroup_id_x 1
		.amdhsa_system_sgpr_workgroup_id_y 0
		.amdhsa_system_sgpr_workgroup_id_z 0
		.amdhsa_system_sgpr_workgroup_info 0
		.amdhsa_system_vgpr_workitem_id 0
		.amdhsa_next_free_vgpr 183
		.amdhsa_next_free_sgpr 40
		.amdhsa_reserve_vcc 1
		.amdhsa_float_round_mode_32 0
		.amdhsa_float_round_mode_16_64 0
		.amdhsa_float_denorm_mode_32 3
		.amdhsa_float_denorm_mode_16_64 3
		.amdhsa_fp16_overflow 0
		.amdhsa_workgroup_processor_mode 1
		.amdhsa_memory_ordered 1
		.amdhsa_forward_progress 0
		.amdhsa_round_robin_scheduling 0
		.amdhsa_exception_fp_ieee_invalid_op 0
		.amdhsa_exception_fp_denorm_src 0
		.amdhsa_exception_fp_ieee_div_zero 0
		.amdhsa_exception_fp_ieee_overflow 0
		.amdhsa_exception_fp_ieee_underflow 0
		.amdhsa_exception_fp_ieee_inexact 0
		.amdhsa_exception_int_div_zero 0
	.end_amdhsa_kernel
	.text
.Lfunc_end0:
	.size	fft_rtc_fwd_len650_factors_10_5_13_wgs_195_tpt_65_dp_ip_CI_sbrr_dirReg, .Lfunc_end0-fft_rtc_fwd_len650_factors_10_5_13_wgs_195_tpt_65_dp_ip_CI_sbrr_dirReg
                                        ; -- End function
	.section	.AMDGPU.csdata,"",@progbits
; Kernel info:
; codeLenInByte = 9348
; NumSgprs: 42
; NumVgprs: 183
; ScratchSize: 0
; MemoryBound: 1
; FloatMode: 240
; IeeeMode: 1
; LDSByteSize: 0 bytes/workgroup (compile time only)
; SGPRBlocks: 5
; VGPRBlocks: 22
; NumSGPRsForWavesPerEU: 42
; NumVGPRsForWavesPerEU: 183
; Occupancy: 8
; WaveLimiterHint : 1
; COMPUTE_PGM_RSRC2:SCRATCH_EN: 0
; COMPUTE_PGM_RSRC2:USER_SGPR: 2
; COMPUTE_PGM_RSRC2:TRAP_HANDLER: 0
; COMPUTE_PGM_RSRC2:TGID_X_EN: 1
; COMPUTE_PGM_RSRC2:TGID_Y_EN: 0
; COMPUTE_PGM_RSRC2:TGID_Z_EN: 0
; COMPUTE_PGM_RSRC2:TIDIG_COMP_CNT: 0
	.text
	.p2alignl 7, 3214868480
	.fill 96, 4, 3214868480
	.type	__hip_cuid_2e14d3e603fefabc,@object ; @__hip_cuid_2e14d3e603fefabc
	.section	.bss,"aw",@nobits
	.globl	__hip_cuid_2e14d3e603fefabc
__hip_cuid_2e14d3e603fefabc:
	.byte	0                               ; 0x0
	.size	__hip_cuid_2e14d3e603fefabc, 1

	.ident	"AMD clang version 19.0.0git (https://github.com/RadeonOpenCompute/llvm-project roc-6.4.0 25133 c7fe45cf4b819c5991fe208aaa96edf142730f1d)"
	.section	".note.GNU-stack","",@progbits
	.addrsig
	.addrsig_sym __hip_cuid_2e14d3e603fefabc
	.amdgpu_metadata
---
amdhsa.kernels:
  - .args:
      - .actual_access:  read_only
        .address_space:  global
        .offset:         0
        .size:           8
        .value_kind:     global_buffer
      - .offset:         8
        .size:           8
        .value_kind:     by_value
      - .actual_access:  read_only
        .address_space:  global
        .offset:         16
        .size:           8
        .value_kind:     global_buffer
      - .actual_access:  read_only
        .address_space:  global
        .offset:         24
        .size:           8
        .value_kind:     global_buffer
      - .offset:         32
        .size:           8
        .value_kind:     by_value
      - .actual_access:  read_only
        .address_space:  global
        .offset:         40
        .size:           8
        .value_kind:     global_buffer
      - .actual_access:  read_only
        .address_space:  global
        .offset:         48
        .size:           8
        .value_kind:     global_buffer
      - .offset:         56
        .size:           4
        .value_kind:     by_value
      - .actual_access:  read_only
        .address_space:  global
        .offset:         64
        .size:           8
        .value_kind:     global_buffer
      - .actual_access:  read_only
        .address_space:  global
        .offset:         72
        .size:           8
        .value_kind:     global_buffer
      - .address_space:  global
        .offset:         80
        .size:           8
        .value_kind:     global_buffer
    .group_segment_fixed_size: 0
    .kernarg_segment_align: 8
    .kernarg_segment_size: 88
    .language:       OpenCL C
    .language_version:
      - 2
      - 0
    .max_flat_workgroup_size: 195
    .name:           fft_rtc_fwd_len650_factors_10_5_13_wgs_195_tpt_65_dp_ip_CI_sbrr_dirReg
    .private_segment_fixed_size: 0
    .sgpr_count:     42
    .sgpr_spill_count: 0
    .symbol:         fft_rtc_fwd_len650_factors_10_5_13_wgs_195_tpt_65_dp_ip_CI_sbrr_dirReg.kd
    .uniform_work_group_size: 1
    .uses_dynamic_stack: false
    .vgpr_count:     183
    .vgpr_spill_count: 0
    .wavefront_size: 32
    .workgroup_processor_mode: 1
amdhsa.target:   amdgcn-amd-amdhsa--gfx1201
amdhsa.version:
  - 1
  - 2
...

	.end_amdgpu_metadata
